;; amdgpu-corpus repo=ROCm/rocFFT kind=compiled arch=gfx906 opt=O3
	.text
	.amdgcn_target "amdgcn-amd-amdhsa--gfx906"
	.amdhsa_code_object_version 6
	.protected	fft_rtc_fwd_len3840_factors_10_6_2_2_2_2_2_2_wgs_128_tpt_128_halfLds_sp_op_CI_CI_unitstride_sbrr_R2C_dirReg ; -- Begin function fft_rtc_fwd_len3840_factors_10_6_2_2_2_2_2_2_wgs_128_tpt_128_halfLds_sp_op_CI_CI_unitstride_sbrr_R2C_dirReg
	.globl	fft_rtc_fwd_len3840_factors_10_6_2_2_2_2_2_2_wgs_128_tpt_128_halfLds_sp_op_CI_CI_unitstride_sbrr_R2C_dirReg
	.p2align	8
	.type	fft_rtc_fwd_len3840_factors_10_6_2_2_2_2_2_2_wgs_128_tpt_128_halfLds_sp_op_CI_CI_unitstride_sbrr_R2C_dirReg,@function
fft_rtc_fwd_len3840_factors_10_6_2_2_2_2_2_2_wgs_128_tpt_128_halfLds_sp_op_CI_CI_unitstride_sbrr_R2C_dirReg: ; @fft_rtc_fwd_len3840_factors_10_6_2_2_2_2_2_2_wgs_128_tpt_128_halfLds_sp_op_CI_CI_unitstride_sbrr_R2C_dirReg
; %bb.0:
	s_load_dwordx4 s[12:15], s[4:5], 0x0
	s_load_dwordx4 s[8:11], s[4:5], 0x58
	;; [unrolled: 1-line block ×3, first 2 shown]
	v_mov_b32_e32 v4, 0
	v_mov_b32_e32 v2, 0
	s_waitcnt lgkmcnt(0)
	v_cmp_lt_u64_e64 s[0:1], s[14:15], 2
	v_mov_b32_e32 v6, s6
	v_mov_b32_e32 v7, v4
	s_and_b64 vcc, exec, s[0:1]
	v_mov_b32_e32 v3, 0
	s_cbranch_vccnz .LBB0_8
; %bb.1:
	s_load_dwordx2 s[0:1], s[4:5], 0x10
	s_add_u32 s2, s18, 8
	s_addc_u32 s3, s19, 0
	s_add_u32 s6, s16, 8
	v_mov_b32_e32 v2, 0
	s_addc_u32 s7, s17, 0
	v_mov_b32_e32 v3, 0
	s_waitcnt lgkmcnt(0)
	s_add_u32 s20, s0, 8
	v_mov_b32_e32 v63, v3
	s_addc_u32 s21, s1, 0
	s_mov_b64 s[22:23], 1
	v_mov_b32_e32 v62, v2
.LBB0_2:                                ; =>This Inner Loop Header: Depth=1
	s_load_dwordx2 s[24:25], s[20:21], 0x0
                                        ; implicit-def: $vgpr64_vgpr65
	s_waitcnt lgkmcnt(0)
	v_or_b32_e32 v5, s25, v7
	v_cmp_ne_u64_e32 vcc, 0, v[4:5]
	s_and_saveexec_b64 s[0:1], vcc
	s_xor_b64 s[26:27], exec, s[0:1]
	s_cbranch_execz .LBB0_4
; %bb.3:                                ;   in Loop: Header=BB0_2 Depth=1
	v_cvt_f32_u32_e32 v1, s24
	v_cvt_f32_u32_e32 v5, s25
	s_sub_u32 s0, 0, s24
	s_subb_u32 s1, 0, s25
	v_mac_f32_e32 v1, 0x4f800000, v5
	v_rcp_f32_e32 v1, v1
	v_mul_f32_e32 v1, 0x5f7ffffc, v1
	v_mul_f32_e32 v5, 0x2f800000, v1
	v_trunc_f32_e32 v5, v5
	v_mac_f32_e32 v1, 0xcf800000, v5
	v_cvt_u32_f32_e32 v5, v5
	v_cvt_u32_f32_e32 v1, v1
	v_mul_lo_u32 v8, s0, v5
	v_mul_hi_u32 v9, s0, v1
	v_mul_lo_u32 v11, s1, v1
	v_mul_lo_u32 v10, s0, v1
	v_add_u32_e32 v8, v9, v8
	v_add_u32_e32 v8, v8, v11
	v_mul_hi_u32 v9, v1, v10
	v_mul_lo_u32 v11, v1, v8
	v_mul_hi_u32 v13, v1, v8
	v_mul_hi_u32 v12, v5, v10
	v_mul_lo_u32 v10, v5, v10
	v_mul_hi_u32 v14, v5, v8
	v_add_co_u32_e32 v9, vcc, v9, v11
	v_addc_co_u32_e32 v11, vcc, 0, v13, vcc
	v_mul_lo_u32 v8, v5, v8
	v_add_co_u32_e32 v9, vcc, v9, v10
	v_addc_co_u32_e32 v9, vcc, v11, v12, vcc
	v_addc_co_u32_e32 v10, vcc, 0, v14, vcc
	v_add_co_u32_e32 v8, vcc, v9, v8
	v_addc_co_u32_e32 v9, vcc, 0, v10, vcc
	v_add_co_u32_e32 v1, vcc, v1, v8
	v_addc_co_u32_e32 v5, vcc, v5, v9, vcc
	v_mul_lo_u32 v8, s0, v5
	v_mul_hi_u32 v9, s0, v1
	v_mul_lo_u32 v10, s1, v1
	v_mul_lo_u32 v11, s0, v1
	v_add_u32_e32 v8, v9, v8
	v_add_u32_e32 v8, v8, v10
	v_mul_lo_u32 v12, v1, v8
	v_mul_hi_u32 v13, v1, v11
	v_mul_hi_u32 v14, v1, v8
	;; [unrolled: 1-line block ×3, first 2 shown]
	v_mul_lo_u32 v11, v5, v11
	v_mul_hi_u32 v9, v5, v8
	v_add_co_u32_e32 v12, vcc, v13, v12
	v_addc_co_u32_e32 v13, vcc, 0, v14, vcc
	v_mul_lo_u32 v8, v5, v8
	v_add_co_u32_e32 v11, vcc, v12, v11
	v_addc_co_u32_e32 v10, vcc, v13, v10, vcc
	v_addc_co_u32_e32 v9, vcc, 0, v9, vcc
	v_add_co_u32_e32 v8, vcc, v10, v8
	v_addc_co_u32_e32 v9, vcc, 0, v9, vcc
	v_add_co_u32_e32 v1, vcc, v1, v8
	v_addc_co_u32_e32 v5, vcc, v5, v9, vcc
	v_mad_u64_u32 v[8:9], s[0:1], v6, v5, 0
	v_mul_hi_u32 v10, v6, v1
	v_add_co_u32_e32 v12, vcc, v10, v8
	v_addc_co_u32_e32 v13, vcc, 0, v9, vcc
	v_mad_u64_u32 v[8:9], s[0:1], v7, v1, 0
	v_mad_u64_u32 v[10:11], s[0:1], v7, v5, 0
	v_add_co_u32_e32 v1, vcc, v12, v8
	v_addc_co_u32_e32 v1, vcc, v13, v9, vcc
	v_addc_co_u32_e32 v5, vcc, 0, v11, vcc
	v_add_co_u32_e32 v1, vcc, v1, v10
	v_addc_co_u32_e32 v5, vcc, 0, v5, vcc
	v_mul_lo_u32 v10, s25, v1
	v_mul_lo_u32 v11, s24, v5
	v_mad_u64_u32 v[8:9], s[0:1], s24, v1, 0
	v_add3_u32 v9, v9, v11, v10
	v_sub_u32_e32 v10, v7, v9
	v_mov_b32_e32 v11, s25
	v_sub_co_u32_e32 v8, vcc, v6, v8
	v_subb_co_u32_e64 v10, s[0:1], v10, v11, vcc
	v_subrev_co_u32_e64 v11, s[0:1], s24, v8
	v_subbrev_co_u32_e64 v10, s[0:1], 0, v10, s[0:1]
	v_cmp_le_u32_e64 s[0:1], s25, v10
	v_cndmask_b32_e64 v12, 0, -1, s[0:1]
	v_cmp_le_u32_e64 s[0:1], s24, v11
	v_cndmask_b32_e64 v11, 0, -1, s[0:1]
	v_cmp_eq_u32_e64 s[0:1], s25, v10
	v_cndmask_b32_e64 v10, v12, v11, s[0:1]
	v_add_co_u32_e64 v11, s[0:1], 2, v1
	v_addc_co_u32_e64 v12, s[0:1], 0, v5, s[0:1]
	v_add_co_u32_e64 v13, s[0:1], 1, v1
	v_addc_co_u32_e64 v14, s[0:1], 0, v5, s[0:1]
	v_subb_co_u32_e32 v9, vcc, v7, v9, vcc
	v_cmp_ne_u32_e64 s[0:1], 0, v10
	v_cmp_le_u32_e32 vcc, s25, v9
	v_cndmask_b32_e64 v10, v14, v12, s[0:1]
	v_cndmask_b32_e64 v12, 0, -1, vcc
	v_cmp_le_u32_e32 vcc, s24, v8
	v_cndmask_b32_e64 v8, 0, -1, vcc
	v_cmp_eq_u32_e32 vcc, s25, v9
	v_cndmask_b32_e32 v8, v12, v8, vcc
	v_cmp_ne_u32_e32 vcc, 0, v8
	v_cndmask_b32_e32 v65, v5, v10, vcc
	v_cndmask_b32_e64 v5, v13, v11, s[0:1]
	v_cndmask_b32_e32 v64, v1, v5, vcc
.LBB0_4:                                ;   in Loop: Header=BB0_2 Depth=1
	s_andn2_saveexec_b64 s[0:1], s[26:27]
	s_cbranch_execz .LBB0_6
; %bb.5:                                ;   in Loop: Header=BB0_2 Depth=1
	v_cvt_f32_u32_e32 v1, s24
	s_sub_i32 s26, 0, s24
	v_mov_b32_e32 v65, v4
	v_rcp_iflag_f32_e32 v1, v1
	v_mul_f32_e32 v1, 0x4f7ffffe, v1
	v_cvt_u32_f32_e32 v1, v1
	v_mul_lo_u32 v5, s26, v1
	v_mul_hi_u32 v5, v1, v5
	v_add_u32_e32 v1, v1, v5
	v_mul_hi_u32 v1, v6, v1
	v_mul_lo_u32 v5, v1, s24
	v_add_u32_e32 v8, 1, v1
	v_sub_u32_e32 v5, v6, v5
	v_subrev_u32_e32 v9, s24, v5
	v_cmp_le_u32_e32 vcc, s24, v5
	v_cndmask_b32_e32 v5, v5, v9, vcc
	v_cndmask_b32_e32 v1, v1, v8, vcc
	v_add_u32_e32 v8, 1, v1
	v_cmp_le_u32_e32 vcc, s24, v5
	v_cndmask_b32_e32 v64, v1, v8, vcc
.LBB0_6:                                ;   in Loop: Header=BB0_2 Depth=1
	s_or_b64 exec, exec, s[0:1]
	v_mul_lo_u32 v1, v65, s24
	v_mul_lo_u32 v5, v64, s25
	v_mad_u64_u32 v[8:9], s[0:1], v64, s24, 0
	s_load_dwordx2 s[0:1], s[6:7], 0x0
	s_load_dwordx2 s[24:25], s[2:3], 0x0
	v_add3_u32 v1, v9, v5, v1
	v_sub_co_u32_e32 v5, vcc, v6, v8
	v_subb_co_u32_e32 v1, vcc, v7, v1, vcc
	s_waitcnt lgkmcnt(0)
	v_mul_lo_u32 v6, s0, v1
	v_mul_lo_u32 v7, s1, v5
	v_mad_u64_u32 v[2:3], s[0:1], s0, v5, v[2:3]
	s_add_u32 s22, s22, 1
	s_addc_u32 s23, s23, 0
	s_add_u32 s2, s2, 8
	v_mul_lo_u32 v1, s24, v1
	v_mul_lo_u32 v8, s25, v5
	v_mad_u64_u32 v[62:63], s[0:1], s24, v5, v[62:63]
	v_add3_u32 v3, v7, v3, v6
	s_addc_u32 s3, s3, 0
	v_mov_b32_e32 v5, s14
	s_add_u32 s6, s6, 8
	v_mov_b32_e32 v6, s15
	s_addc_u32 s7, s7, 0
	v_cmp_ge_u64_e32 vcc, s[22:23], v[5:6]
	s_add_u32 s20, s20, 8
	v_add3_u32 v63, v8, v63, v1
	s_addc_u32 s21, s21, 0
	s_cbranch_vccnz .LBB0_9
; %bb.7:                                ;   in Loop: Header=BB0_2 Depth=1
	v_mov_b32_e32 v6, v64
	v_mov_b32_e32 v7, v65
	s_branch .LBB0_2
.LBB0_8:
	v_mov_b32_e32 v63, v3
	v_mov_b32_e32 v65, v7
	;; [unrolled: 1-line block ×4, first 2 shown]
.LBB0_9:
	s_load_dwordx2 s[0:1], s[4:5], 0x28
	s_lshl_b64 s[6:7], s[14:15], 3
	s_add_u32 s2, s18, s6
	s_addc_u32 s3, s19, s7
                                        ; implicit-def: $vgpr68
                                        ; implicit-def: $vgpr66
                                        ; implicit-def: $vgpr86
                                        ; implicit-def: $vgpr70
                                        ; implicit-def: $vgpr92
                                        ; implicit-def: $vgpr88
                                        ; implicit-def: $vgpr90
                                        ; implicit-def: $vgpr80
                                        ; implicit-def: $vgpr74
                                        ; implicit-def: $vgpr72
                                        ; implicit-def: $vgpr82
                                        ; implicit-def: $vgpr78
                                        ; implicit-def: $vgpr76
                                        ; implicit-def: $vgpr84
	s_waitcnt lgkmcnt(0)
	v_cmp_gt_u64_e32 vcc, s[0:1], v[64:65]
	v_cmp_le_u64_e64 s[0:1], s[0:1], v[64:65]
	s_and_saveexec_b64 s[4:5], s[0:1]
	s_xor_b64 s[0:1], exec, s[4:5]
	s_cbranch_execz .LBB0_11
; %bb.10:
	v_mov_b32_e32 v1, 0
	v_or_b32_e32 v68, 0x80, v0
	v_or_b32_e32 v66, 0x100, v0
	;; [unrolled: 1-line block ×13, first 2 shown]
	v_mov_b32_e32 v69, v1
	v_mov_b32_e32 v67, v1
	;; [unrolled: 1-line block ×13, first 2 shown]
	v_or_b32_e32 v84, 0x700, v0
	v_mov_b32_e32 v85, v1
                                        ; implicit-def: $vgpr2_vgpr3
.LBB0_11:
	s_andn2_saveexec_b64 s[4:5], s[0:1]
	s_cbranch_execz .LBB0_13
; %bb.12:
	s_add_u32 s0, s16, s6
	s_addc_u32 s1, s17, s7
	s_load_dwordx2 s[0:1], s[0:1], 0x0
	v_lshlrev_b64 v[1:2], 3, v[2:3]
	v_mov_b32_e32 v8, s9
	v_lshlrev_b32_e32 v69, 3, v0
	v_or_b32_e32 v88, 0x200, v0
	s_waitcnt lgkmcnt(0)
	v_mul_lo_u32 v6, s1, v64
	v_mul_lo_u32 v7, s0, v65
	v_mad_u64_u32 v[4:5], s[0:1], s0, v64, 0
	v_or_b32_e32 v86, 0x280, v0
	v_lshlrev_b32_e32 v11, 3, v86
	v_add3_u32 v5, v5, v7, v6
	v_lshlrev_b64 v[3:4], 3, v[4:5]
	v_or_b32_e32 v90, 0x300, v0
	v_add_co_u32_e64 v3, s[0:1], s8, v3
	v_addc_co_u32_e64 v4, s[0:1], v8, v4, s[0:1]
	v_add_co_u32_e64 v61, s[0:1], v3, v1
	v_addc_co_u32_e64 v68, s[0:1], v4, v2, s[0:1]
	;; [unrolled: 2-line block ×3, first 2 shown]
	global_load_dwordx2 v[3:4], v[1:2], off
	global_load_dwordx2 v[5:6], v[1:2], off offset:1024
	global_load_dwordx2 v[7:8], v[1:2], off offset:2048
	;; [unrolled: 1-line block ×3, first 2 shown]
	v_lshlrev_b32_e32 v1, 3, v88
	v_add_co_u32_e64 v1, s[0:1], v61, v1
	v_addc_co_u32_e64 v2, s[0:1], 0, v68, s[0:1]
	v_add_co_u32_e64 v11, s[0:1], v61, v11
	v_addc_co_u32_e64 v12, s[0:1], 0, v68, s[0:1]
	v_lshlrev_b32_e32 v13, 3, v90
	v_or_b32_e32 v80, 0x380, v0
	v_add_co_u32_e64 v13, s[0:1], v61, v13
	v_lshlrev_b32_e32 v71, 3, v80
	v_addc_co_u32_e64 v14, s[0:1], 0, v68, s[0:1]
	v_or_b32_e32 v74, 0x400, v0
	v_add_co_u32_e64 v15, s[0:1], v61, v71
	v_lshlrev_b32_e32 v25, 3, v74
	v_addc_co_u32_e64 v16, s[0:1], 0, v68, s[0:1]
	v_or_b32_e32 v72, 0x480, v0
	global_load_dwordx2 v[17:18], v[1:2], off
	global_load_dwordx2 v[19:20], v[11:12], off
	;; [unrolled: 1-line block ×4, first 2 shown]
	v_add_co_u32_e64 v1, s[0:1], v61, v25
	v_lshlrev_b32_e32 v11, 3, v72
	v_addc_co_u32_e64 v2, s[0:1], 0, v68, s[0:1]
	v_or_b32_e32 v70, 0x500, v0
	v_add_co_u32_e64 v11, s[0:1], v61, v11
	v_lshlrev_b32_e32 v13, 3, v70
	v_addc_co_u32_e64 v12, s[0:1], 0, v68, s[0:1]
	v_add_co_u32_e64 v13, s[0:1], v61, v13
	v_or_b32_e32 v82, 0x580, v0
	v_addc_co_u32_e64 v14, s[0:1], 0, v68, s[0:1]
	v_lshlrev_b32_e32 v15, 3, v82
	v_add_co_u32_e64 v15, s[0:1], v61, v15
	v_or_b32_e32 v78, 0x600, v0
	v_addc_co_u32_e64 v16, s[0:1], 0, v68, s[0:1]
	global_load_dwordx2 v[25:26], v[1:2], off
	global_load_dwordx2 v[27:28], v[11:12], off
	;; [unrolled: 1-line block ×4, first 2 shown]
	v_lshlrev_b32_e32 v1, 3, v78
	v_add_co_u32_e64 v1, s[0:1], v61, v1
	v_or_b32_e32 v76, 0x680, v0
	v_addc_co_u32_e64 v2, s[0:1], 0, v68, s[0:1]
	v_lshlrev_b32_e32 v11, 3, v76
	v_add_co_u32_e64 v11, s[0:1], v61, v11
	v_or_b32_e32 v84, 0x700, v0
	v_addc_co_u32_e64 v12, s[0:1], 0, v68, s[0:1]
	v_lshlrev_b32_e32 v13, 3, v84
	v_add_co_u32_e64 v13, s[0:1], v61, v13
	v_addc_co_u32_e64 v14, s[0:1], 0, v68, s[0:1]
	v_or_b32_e32 v73, 0x3c00, v69
	v_add_co_u32_e64 v15, s[0:1], v61, v73
	v_addc_co_u32_e64 v16, s[0:1], 0, v68, s[0:1]
	global_load_dwordx2 v[33:34], v[1:2], off
	global_load_dwordx2 v[35:36], v[11:12], off
	;; [unrolled: 1-line block ×4, first 2 shown]
	v_or_b32_e32 v1, 0x4000, v69
	v_add_co_u32_e64 v1, s[0:1], v61, v1
	v_addc_co_u32_e64 v2, s[0:1], 0, v68, s[0:1]
	v_or_b32_e32 v11, 0x4400, v69
	v_add_co_u32_e64 v11, s[0:1], v61, v11
	v_addc_co_u32_e64 v12, s[0:1], 0, v68, s[0:1]
	;; [unrolled: 3-line block ×4, first 2 shown]
	global_load_dwordx2 v[41:42], v[1:2], off
	global_load_dwordx2 v[43:44], v[11:12], off
	;; [unrolled: 1-line block ×4, first 2 shown]
	v_or_b32_e32 v1, 0x5000, v69
	v_add_co_u32_e64 v1, s[0:1], v61, v1
	v_addc_co_u32_e64 v2, s[0:1], 0, v68, s[0:1]
	v_or_b32_e32 v11, 0x5400, v69
	v_add_co_u32_e64 v11, s[0:1], v61, v11
	v_addc_co_u32_e64 v12, s[0:1], 0, v68, s[0:1]
	;; [unrolled: 3-line block ×3, first 2 shown]
	global_load_dwordx2 v[15:16], v[1:2], off
	global_load_dwordx2 v[49:50], v[11:12], off
	;; [unrolled: 1-line block ×3, first 2 shown]
	v_or_b32_e32 v1, 0x6000, v69
	v_add_co_u32_e64 v1, s[0:1], v61, v1
	v_addc_co_u32_e64 v2, s[0:1], 0, v68, s[0:1]
	v_or_b32_e32 v11, 0x6400, v69
	v_add_co_u32_e64 v11, s[0:1], v61, v11
	v_addc_co_u32_e64 v12, s[0:1], 0, v68, s[0:1]
	;; [unrolled: 3-line block ×4, first 2 shown]
	global_load_dwordx2 v[55:56], v[1:2], off
	global_load_dwordx2 v[57:58], v[11:12], off
	;; [unrolled: 1-line block ×4, first 2 shown]
	v_or_b32_e32 v1, 0x7000, v69
	v_add_co_u32_e64 v1, s[0:1], v61, v1
	v_or_b32_e32 v75, 0x5c00, v69
	v_addc_co_u32_e64 v2, s[0:1], 0, v68, s[0:1]
	v_add_co_u32_e64 v11, s[0:1], v61, v75
	v_addc_co_u32_e64 v12, s[0:1], 0, v68, s[0:1]
	v_or_b32_e32 v13, 0x7400, v69
	v_add_co_u32_e64 v13, s[0:1], v61, v13
	v_addc_co_u32_e64 v14, s[0:1], 0, v68, s[0:1]
	global_load_dwordx2 v[1:2], v[1:2], off
	v_add_u32_e32 v53, 0, v69
	global_load_dwordx2 v[11:12], v[11:12], off
	v_or_b32_e32 v68, 0x80, v0
	global_load_dwordx2 v[13:14], v[13:14], off
	s_waitcnt vmcnt(28)
	ds_write2st64_b64 v53, v[3:4], v[5:6] offset1:2
	s_waitcnt vmcnt(26)
	ds_write2st64_b64 v53, v[7:8], v[9:10] offset0:4 offset1:6
	s_waitcnt vmcnt(24)
	ds_write2st64_b64 v53, v[17:18], v[19:20] offset0:8 offset1:10
	;; [unrolled: 2-line block ×12, first 2 shown]
	v_add_u32_e32 v1, 0, v71
	ds_write_b64 v1, v[23:24]
	v_add_u32_e32 v1, 0, v73
	ds_write_b64 v1, v[39:40]
	v_mov_b32_e32 v1, 0
	v_add_u32_e32 v2, 0, v75
	v_mov_b32_e32 v69, v1
	v_or_b32_e32 v66, 0x100, v0
	v_mov_b32_e32 v67, v1
	v_or_b32_e32 v92, 0x180, v0
	v_mov_b32_e32 v93, v1
	v_mov_b32_e32 v89, v1
	;; [unrolled: 1-line block ×12, first 2 shown]
	s_waitcnt vmcnt(1)
	ds_write_b64 v2, v[11:12]
	s_waitcnt vmcnt(0)
	ds_write_b64 v53, v[13:14] offset:29696
.LBB0_13:
	s_or_b64 exec, exec, s[4:5]
	v_lshlrev_b32_e32 v95, 3, v0
	v_add_u32_e32 v94, 0, v95
	s_load_dwordx2 s[2:3], s[2:3], 0x0
	s_waitcnt lgkmcnt(0)
	s_barrier
	ds_read2st64_b64 v[10:13], v94 offset0:12 offset1:14
	ds_read2st64_b64 v[22:25], v94 offset0:24 offset1:26
	;; [unrolled: 1-line block ×8, first 2 shown]
	s_waitcnt lgkmcnt(6)
	v_sub_f32_e32 v2, v10, v22
	s_waitcnt lgkmcnt(4)
	v_sub_f32_e32 v3, v26, v18
	v_add_f32_e32 v96, v2, v3
	v_sub_f32_e32 v2, v11, v23
	v_sub_f32_e32 v3, v27, v19
	v_add_f32_e32 v97, v2, v3
	s_waitcnt lgkmcnt(2)
	v_sub_f32_e32 v2, v8, v16
	s_waitcnt lgkmcnt(0)
	v_sub_f32_e32 v3, v40, v44
	v_add_f32_e32 v98, v2, v3
	ds_read2st64_b64 v[2:5], v94 offset0:4 offset1:6
	v_sub_f32_e32 v30, v9, v17
	v_sub_f32_e32 v31, v41, v45
	v_add_f32_e32 v100, v30, v31
	v_add_f32_e32 v30, v16, v44
	s_waitcnt lgkmcnt(0)
	v_fma_f32 v99, -0.5, v30, v4
	v_add_f32_e32 v30, v17, v45
	v_fma_f32 v101, -0.5, v30, v5
	ds_read2st64_b64 v[30:33], v94 offset1:2
	v_sub_f32_e32 v102, v9, v41
	v_mov_b32_e32 v34, v99
	v_fmac_f32_e32 v34, 0x3f737871, v102
	v_sub_f32_e32 v103, v17, v45
	v_fmac_f32_e32 v34, 0x3f167918, v103
	v_fmac_f32_e32 v34, 0x3e9e377a, v98
	v_mul_f32_e32 v107, 0x3f4f1bbd, v34
	v_mul_f32_e32 v108, 0xbf167918, v34
	s_waitcnt lgkmcnt(0)
	v_add_f32_e32 v34, v30, v10
	v_add_f32_e32 v34, v34, v22
	;; [unrolled: 1-line block ×5, first 2 shown]
	v_sub_f32_e32 v115, v10, v26
	v_sub_f32_e32 v117, v22, v18
	;; [unrolled: 1-line block ×3, first 2 shown]
	v_add_f32_e32 v10, v10, v26
	v_sub_f32_e32 v18, v18, v26
	v_fma_f32 v10, -0.5, v10, v30
	v_fma_f32 v106, -0.5, v34, v30
	v_sub_f32_e32 v114, v23, v19
	v_add_f32_e32 v34, v31, v11
	v_add_f32_e32 v18, v22, v18
	v_mov_b32_e32 v22, v10
	v_sub_f32_e32 v113, v11, v27
	v_add_f32_e32 v34, v34, v23
	v_fmac_f32_e32 v22, 0xbf737871, v114
	v_fmac_f32_e32 v10, 0x3f737871, v114
	v_add_f32_e32 v34, v34, v19
	v_fmac_f32_e32 v22, 0x3f167918, v113
	v_fmac_f32_e32 v10, 0xbf167918, v113
	v_add_f32_e32 v116, v34, v27
	v_add_f32_e32 v34, v23, v19
	v_fmac_f32_e32 v22, 0x3e9e377a, v18
	v_fmac_f32_e32 v10, 0x3e9e377a, v18
	v_sub_f32_e32 v18, v23, v11
	v_add_f32_e32 v11, v11, v27
	v_fma_f32 v109, -0.5, v34, v31
	v_add_f32_e32 v34, v4, v8
	v_sub_f32_e32 v19, v19, v27
	v_fma_f32 v11, -0.5, v11, v31
	v_sub_f32_e32 v104, v8, v40
	v_sub_f32_e32 v105, v16, v44
	v_add_f32_e32 v34, v34, v16
	v_add_f32_e32 v18, v18, v19
	v_mov_b32_e32 v19, v11
	v_sub_f32_e32 v16, v16, v8
	v_add_f32_e32 v8, v8, v40
	v_fmac_f32_e32 v19, 0x3f737871, v117
	v_fmac_f32_e32 v11, 0xbf737871, v117
	v_fma_f32 v4, -0.5, v8, v4
	v_fmac_f32_e32 v19, 0xbf167918, v115
	v_fmac_f32_e32 v11, 0x3f167918, v115
	v_mov_b32_e32 v8, v4
	v_fmac_f32_e32 v19, 0x3e9e377a, v18
	v_fmac_f32_e32 v11, 0x3e9e377a, v18
	v_sub_f32_e32 v18, v44, v40
	v_fmac_f32_e32 v8, 0xbf737871, v103
	v_fmac_f32_e32 v4, 0x3f737871, v103
	v_add_f32_e32 v34, v34, v44
	v_add_f32_e32 v16, v16, v18
	v_fmac_f32_e32 v8, 0x3f167918, v102
	v_fmac_f32_e32 v4, 0xbf167918, v102
	v_add_f32_e32 v118, v34, v40
	v_add_f32_e32 v34, v5, v9
	v_fmac_f32_e32 v8, 0x3e9e377a, v16
	v_fmac_f32_e32 v4, 0x3e9e377a, v16
	v_sub_f32_e32 v16, v17, v9
	v_add_f32_e32 v9, v9, v41
	v_fma_f32 v5, -0.5, v9, v5
	v_mov_b32_e32 v9, v5
	v_add_f32_e32 v34, v34, v17
	v_sub_f32_e32 v17, v45, v41
	v_fmac_f32_e32 v9, 0x3f737871, v105
	v_add_f32_e32 v16, v16, v17
	v_fmac_f32_e32 v9, 0xbf167918, v104
	v_fmac_f32_e32 v5, 0xbf737871, v105
	;; [unrolled: 1-line block ×5, first 2 shown]
	v_mul_f32_e32 v16, 0x3f737871, v9
	v_mov_b32_e32 v35, v101
	v_fmac_f32_e32 v16, 0x3e9e377a, v8
	v_mul_f32_e32 v17, 0xbf737871, v8
	s_mov_b32 s5, 0x3f737871
	v_mul_f32_e32 v8, 0x3e9e377a, v4
	v_fmac_f32_e32 v35, 0xbf737871, v104
	s_mov_b32 s4, 0xbf737871
	v_fma_f32 v18, v5, s5, -v8
	v_mul_f32_e32 v5, 0x3e9e377a, v5
	v_fmac_f32_e32 v99, 0xbf737871, v102
	v_fmac_f32_e32 v35, 0xbf167918, v105
	v_mul_u32_u24_e32 v124, 10, v0
	v_fmac_f32_e32 v17, 0x3e9e377a, v9
	v_fma_f32 v23, v4, s4, -v5
	v_fmac_f32_e32 v99, 0xbf167918, v103
	v_fmac_f32_e32 v101, 0x3f737871, v104
	v_fmac_f32_e32 v35, 0x3e9e377a, v100
	v_add_f32_e32 v34, v34, v45
	v_lshl_add_u32 v124, v124, 3, 0
	v_add_f32_e32 v4, v22, v16
	v_add_f32_e32 v5, v19, v17
	;; [unrolled: 1-line block ×4, first 2 shown]
	v_fmac_f32_e32 v99, 0x3e9e377a, v98
	v_fmac_f32_e32 v101, 0x3f167918, v105
	;; [unrolled: 1-line block ×4, first 2 shown]
	v_mov_b32_e32 v110, v106
	v_mov_b32_e32 v111, v109
	v_add_f32_e32 v123, v34, v41
	ds_read2st64_b64 v[34:37], v94 offset0:8 offset1:10
	ds_read2st64_b64 v[54:57], v94 offset0:20 offset1:22
	;; [unrolled: 1-line block ×5, first 2 shown]
	s_waitcnt lgkmcnt(0)
	s_barrier
	ds_write2_b64 v124, v[4:5], v[8:9] offset0:2 offset1:3
	v_fmac_f32_e32 v106, 0xbf737871, v113
	v_fmac_f32_e32 v109, 0x3f737871, v115
	;; [unrolled: 1-line block ×3, first 2 shown]
	s_mov_b32 s1, 0x3f167918
	v_mul_f32_e32 v8, 0x3f4f1bbd, v99
	v_fmac_f32_e32 v110, 0x3f737871, v113
	v_fmac_f32_e32 v111, 0xbf737871, v115
	;; [unrolled: 1-line block ×4, first 2 shown]
	s_mov_b32 s0, 0xbf167918
	v_fma_f32 v26, v101, s1, -v8
	v_mul_f32_e32 v8, 0x3f4f1bbd, v101
	v_fmac_f32_e32 v110, 0x3f167918, v114
	v_fmac_f32_e32 v111, 0xbf167918, v117
	;; [unrolled: 1-line block ×4, first 2 shown]
	v_fma_f32 v27, v99, s0, -v8
	v_fmac_f32_e32 v110, 0x3e9e377a, v96
	v_fmac_f32_e32 v111, 0x3e9e377a, v97
	v_sub_f32_e32 v4, v112, v118
	v_sub_f32_e32 v5, v116, v123
	v_add_f32_e32 v8, v106, v26
	v_add_f32_e32 v9, v109, v27
	ds_write2_b64 v124, v[8:9], v[4:5] offset0:4 offset1:5
	v_sub_f32_e32 v4, v110, v107
	v_sub_f32_e32 v5, v111, v108
	;; [unrolled: 1-line block ×4, first 2 shown]
	ds_write2_b64 v124, v[4:5], v[8:9] offset0:6 offset1:7
	v_sub_f32_e32 v4, v10, v18
	v_sub_f32_e32 v5, v11, v23
	;; [unrolled: 1-line block ×4, first 2 shown]
	ds_write2_b64 v124, v[4:5], v[8:9] offset0:8 offset1:9
	v_add_f32_e32 v4, v32, v12
	v_add_f32_e32 v4, v4, v24
	;; [unrolled: 1-line block ×18, first 2 shown]
	v_sub_f32_e32 v9, v25, v21
	v_sub_f32_e32 v10, v12, v24
	;; [unrolled: 1-line block ×3, first 2 shown]
	v_add_f32_e32 v16, v25, v21
	v_sub_f32_e32 v17, v24, v20
	v_sub_f32_e32 v18, v13, v25
	;; [unrolled: 1-line block ×4, first 2 shown]
	v_add_f32_e32 v23, v12, v28
	v_sub_f32_e32 v12, v12, v28
	v_add_f32_e32 v13, v13, v29
	v_sub_f32_e32 v24, v28, v20
	v_sub_f32_e32 v20, v20, v28
	;; [unrolled: 1-line block ×4, first 2 shown]
	v_add_f32_e32 v28, v14, v42
	v_sub_f32_e32 v29, v15, v43
	v_sub_f32_e32 v30, v6, v14
	;; [unrolled: 1-line block ×3, first 2 shown]
	v_add_f32_e32 v40, v15, v43
	v_sub_f32_e32 v14, v14, v42
	v_sub_f32_e32 v44, v7, v39
	v_add_f32_e32 v45, v6, v38
	v_sub_f32_e32 v96, v6, v38
	v_add_f32_e32 v97, v7, v39
	v_sub_f32_e32 v98, v38, v42
	v_sub_f32_e32 v42, v42, v38
	;; [unrolled: 1-line block ×4, first 2 shown]
	v_add_f32_e32 v39, v5, v39
	v_add_f32_e32 v4, v4, v58
	;; [unrolled: 1-line block ×4, first 2 shown]
	v_sub_f32_e32 v102, v54, v58
	v_sub_f32_e32 v116, v46, v50
	v_add_f32_e32 v5, v5, v59
	v_add_f32_e32 v104, v59, v51
	;; [unrolled: 1-line block ×5, first 2 shown]
	v_fma_f32 v102, -0.5, v38, v34
	v_add_f32_e32 v119, v112, v118
	v_sub_f32_e32 v103, v58, v54
	v_sub_f32_e32 v58, v58, v50
	;; [unrolled: 1-line block ×4, first 2 shown]
	v_add_f32_e32 v113, v54, v46
	v_sub_f32_e32 v54, v54, v46
	v_add_f32_e32 v5, v5, v51
	v_sub_f32_e32 v50, v50, v46
	v_sub_f32_e32 v117, v47, v51
	v_add_f32_e32 v46, v4, v46
	v_mov_b32_e32 v4, v102
	v_fma_f32 v104, -0.5, v104, v35
	v_add_f32_e32 v121, v110, v107
	v_add_f32_e32 v122, v111, v108
	v_sub_f32_e32 v101, v59, v51
	v_sub_f32_e32 v59, v59, v55
	v_add_f32_e32 v55, v55, v47
	v_sub_f32_e32 v51, v51, v47
	v_add_f32_e32 v47, v5, v47
	v_add_f32_e32 v18, v18, v25
	;; [unrolled: 1-line block ×3, first 2 shown]
	v_fmac_f32_e32 v4, 0x3f737871, v112
	v_mov_b32_e32 v5, v104
	v_fma_f32 v117, -0.5, v8, v32
	v_fma_f32 v16, -0.5, v16, v33
	ds_write2_b64 v124, v[119:120], v[121:122] offset1:1
	v_fmac_f32_e32 v4, 0x3f167918, v101
	v_fmac_f32_e32 v5, 0xbf737871, v54
	v_mov_b32_e32 v8, v117
	v_mov_b32_e32 v120, v16
	v_sub_f32_e32 v41, v7, v15
	v_sub_f32_e32 v15, v15, v7
	v_add_f32_e32 v6, v36, v56
	v_add_f32_e32 v7, v37, v57
	v_fmac_f32_e32 v4, 0x3e9e377a, v24
	v_fmac_f32_e32 v5, 0xbf167918, v58
	;; [unrolled: 1-line block ×4, first 2 shown]
	v_add_f32_e32 v6, v6, v60
	v_add_f32_e32 v7, v7, v61
	v_fmac_f32_e32 v5, 0x3e9e377a, v25
	v_mul_f32_e32 v105, 0x3f4f1bbd, v4
	v_mul_f32_e32 v116, 0xbf167918, v4
	v_fmac_f32_e32 v8, 0x3f167918, v9
	v_fmac_f32_e32 v120, 0xbf167918, v17
	v_add_f32_e32 v6, v6, v52
	v_add_f32_e32 v7, v7, v53
	v_fmac_f32_e32 v105, 0x3f167918, v5
	v_fmac_f32_e32 v116, 0x3f4f1bbd, v5
	;; [unrolled: 1-line block ×4, first 2 shown]
	v_mul_i32_i24_e32 v38, 10, v68
	v_add_f32_e32 v106, v60, v52
	v_sub_f32_e32 v107, v61, v53
	v_sub_f32_e32 v108, v56, v60
	;; [unrolled: 1-line block ×3, first 2 shown]
	v_add_f32_e32 v110, v61, v53
	v_sub_f32_e32 v60, v60, v52
	v_sub_f32_e32 v111, v57, v61
	;; [unrolled: 1-line block ×4, first 2 shown]
	v_add_f32_e32 v115, v56, v48
	v_sub_f32_e32 v56, v56, v48
	v_add_f32_e32 v57, v57, v49
	v_sub_f32_e32 v118, v48, v52
	v_sub_f32_e32 v52, v52, v48
	;; [unrolled: 1-line block ×4, first 2 shown]
	v_add_f32_e32 v48, v6, v48
	v_add_f32_e32 v49, v7, v49
	;; [unrolled: 1-line block ×6, first 2 shown]
	v_lshl_add_u32 v38, v38, 3, 0
	ds_write2_b64 v38, v[4:5], v[6:7] offset1:1
	v_add_f32_e32 v4, v11, v20
	v_fma_f32 v11, -0.5, v23, v32
	v_mov_b32_e32 v20, v11
	v_fmac_f32_e32 v33, -0.5, v13
	v_fmac_f32_e32 v20, 0xbf737871, v9
	v_fmac_f32_e32 v11, 0x3f737871, v9
	v_mov_b32_e32 v13, v33
	v_fma_f32 v5, -0.5, v113, v34
	v_fmac_f32_e32 v20, 0x3f167918, v22
	v_fmac_f32_e32 v11, 0xbf167918, v22
	v_fmac_f32_e32 v13, 0x3f737871, v17
	v_fmac_f32_e32 v33, 0xbf737871, v17
	v_mov_b32_e32 v6, v5
	v_fma_f32 v7, -0.5, v55, v35
	v_fmac_f32_e32 v20, 0x3e9e377a, v4
	v_fmac_f32_e32 v11, 0x3e9e377a, v4
	v_add_f32_e32 v4, v19, v21
	v_fmac_f32_e32 v13, 0xbf167918, v12
	v_fmac_f32_e32 v33, 0x3f167918, v12
	;; [unrolled: 1-line block ×4, first 2 shown]
	v_mov_b32_e32 v19, v7
	v_fmac_f32_e32 v13, 0x3e9e377a, v4
	v_fmac_f32_e32 v33, 0x3e9e377a, v4
	v_add_f32_e32 v4, v103, v50
	v_fmac_f32_e32 v6, 0x3f167918, v112
	v_fmac_f32_e32 v5, 0xbf167918, v112
	;; [unrolled: 1-line block ×6, first 2 shown]
	v_add_f32_e32 v4, v59, v51
	v_fmac_f32_e32 v19, 0xbf167918, v54
	v_fmac_f32_e32 v7, 0x3f167918, v54
	;; [unrolled: 1-line block ×4, first 2 shown]
	v_mul_f32_e32 v23, 0xbf737871, v6
	v_mul_f32_e32 v4, 0x3e9e377a, v5
	;; [unrolled: 1-line block ×3, first 2 shown]
	v_fmac_f32_e32 v23, 0x3e9e377a, v19
	v_fma_f32 v19, v7, s5, -v4
	v_mul_f32_e32 v4, 0x3e9e377a, v7
	v_fmac_f32_e32 v102, 0xbf737871, v112
	v_fmac_f32_e32 v21, 0x3e9e377a, v6
	v_fma_f32 v32, v5, s4, -v4
	v_fmac_f32_e32 v102, 0xbf167918, v101
	v_fmac_f32_e32 v104, 0x3f737871, v54
	v_add_f32_e32 v4, v20, v21
	v_add_f32_e32 v5, v13, v23
	;; [unrolled: 1-line block ×4, first 2 shown]
	v_fmac_f32_e32 v102, 0x3e9e377a, v24
	v_fmac_f32_e32 v104, 0x3f167918, v58
	ds_write2_b64 v38, v[4:5], v[6:7] offset0:2 offset1:3
	v_fmac_f32_e32 v117, 0xbf737871, v22
	v_fmac_f32_e32 v16, 0x3f737871, v12
	;; [unrolled: 1-line block ×3, first 2 shown]
	v_mul_f32_e32 v6, 0x3f4f1bbd, v102
	v_fmac_f32_e32 v117, 0xbf167918, v9
	v_fmac_f32_e32 v16, 0x3f167918, v17
	v_fma_f32 v9, v104, s1, -v6
	v_mul_f32_e32 v6, 0x3f4f1bbd, v104
	v_fmac_f32_e32 v117, 0x3e9e377a, v10
	v_fmac_f32_e32 v16, 0x3e9e377a, v18
	v_fma_f32 v10, v102, s0, -v6
	v_sub_f32_e32 v4, v26, v46
	v_sub_f32_e32 v5, v27, v47
	v_add_f32_e32 v6, v117, v9
	v_add_f32_e32 v7, v16, v10
	ds_write2_b64 v38, v[6:7], v[4:5] offset0:4 offset1:5
	v_sub_f32_e32 v4, v8, v105
	v_sub_f32_e32 v5, v120, v116
	;; [unrolled: 1-line block ×4, first 2 shown]
	ds_write2_b64 v38, v[4:5], v[6:7] offset0:6 offset1:7
	v_fma_f32 v6, -0.5, v115, v36
	v_fma_f32 v24, -0.5, v110, v37
	v_fmac_f32_e32 v37, -0.5, v57
	v_mov_b32_e32 v20, v6
	v_fmac_f32_e32 v6, 0x3f737871, v107
	v_add_f32_e32 v5, v109, v52
	v_fmac_f32_e32 v6, 0xbf167918, v114
	v_mov_b32_e32 v21, v37
	v_fmac_f32_e32 v37, 0xbf737871, v60
	v_add_f32_e32 v7, v61, v53
	v_fmac_f32_e32 v6, 0x3e9e377a, v5
	v_fmac_f32_e32 v37, 0x3f167918, v56
	v_fma_f32 v26, -0.5, v40, v3
	v_fmac_f32_e32 v3, -0.5, v97
	v_fmac_f32_e32 v37, 0x3e9e377a, v7
	v_mul_f32_e32 v8, 0x3e9e377a, v6
	v_fma_f32 v27, -0.5, v28, v2
	v_mov_b32_e32 v22, v3
	v_fmac_f32_e32 v3, 0xbf737871, v14
	v_fma_f32 v12, v37, s5, -v8
	v_mul_f32_e32 v8, 0x3e9e377a, v37
	v_add_f32_e32 v13, v15, v43
	v_fma_f32 v2, -0.5, v45, v2
	v_fmac_f32_e32 v3, 0x3f167918, v96
	v_mov_b32_e32 v17, v27
	v_fma_f32 v8, v6, s4, -v8
	v_fmac_f32_e32 v3, 0x3e9e377a, v13
	v_fmac_f32_e32 v17, 0x3f737871, v44
	;; [unrolled: 1-line block ×3, first 2 shown]
	v_mov_b32_e32 v23, v2
	v_fma_f32 v25, -0.5, v106, v36
	v_add_f32_e32 v6, v3, v8
	v_sub_f32_e32 v8, v3, v8
	v_sub_f32_e32 v3, v11, v19
	v_add_f32_e32 v11, v30, v98
	v_fmac_f32_e32 v17, 0x3f167918, v29
	v_fmac_f32_e32 v27, 0xbf167918, v29
	;; [unrolled: 1-line block ×4, first 2 shown]
	v_mov_b32_e32 v18, v26
	v_sub_f32_e32 v10, v16, v10
	v_fmac_f32_e32 v17, 0x3e9e377a, v11
	v_fmac_f32_e32 v27, 0x3e9e377a, v11
	v_add_f32_e32 v11, v31, v42
	v_fmac_f32_e32 v23, 0x3f167918, v44
	v_fmac_f32_e32 v2, 0xbf167918, v44
	;; [unrolled: 1-line block ×4, first 2 shown]
	v_mov_b32_e32 v16, v25
	v_fmac_f32_e32 v23, 0x3e9e377a, v11
	v_fmac_f32_e32 v2, 0x3e9e377a, v11
	v_add_f32_e32 v11, v41, v99
	v_fmac_f32_e32 v18, 0xbf167918, v14
	v_fmac_f32_e32 v26, 0x3f167918, v14
	;; [unrolled: 1-line block ×4, first 2 shown]
	v_mov_b32_e32 v19, v24
	v_fmac_f32_e32 v18, 0x3e9e377a, v11
	v_fmac_f32_e32 v26, 0x3e9e377a, v11
	v_add_f32_e32 v11, v108, v118
	v_fmac_f32_e32 v16, 0x3f167918, v107
	v_fmac_f32_e32 v20, 0x3f167918, v114
	;; [unrolled: 1-line block ×7, first 2 shown]
	v_add_f32_e32 v5, v111, v119
	v_fmac_f32_e32 v19, 0xbf167918, v60
	v_fmac_f32_e32 v24, 0x3f167918, v60
	;; [unrolled: 1-line block ×7, first 2 shown]
	v_add_f32_e32 v5, v2, v12
	v_sub_f32_e32 v7, v2, v12
	v_mul_f32_e32 v2, 0x3f4f1bbd, v16
	v_fmac_f32_e32 v22, 0x3f737871, v14
	v_fmac_f32_e32 v25, 0xbf167918, v107
	;; [unrolled: 1-line block ×5, first 2 shown]
	v_add_f32_e32 v15, v17, v2
	v_mul_f32_e32 v28, 0xbf167918, v16
	v_mul_f32_e32 v29, 0x3f737871, v21
	v_sub_f32_e32 v17, v17, v2
	v_mul_f32_e32 v2, 0xbf737871, v20
	v_fmac_f32_e32 v22, 0x3e9e377a, v13
	v_fmac_f32_e32 v28, 0x3f4f1bbd, v19
	;; [unrolled: 1-line block ×4, first 2 shown]
	v_mul_f32_e32 v20, 0x3f4f1bbd, v25
	v_add_f32_e32 v16, v18, v28
	v_sub_f32_e32 v18, v18, v28
	v_fma_f32 v28, v24, s1, -v20
	v_add_f32_e32 v20, v22, v2
	v_sub_f32_e32 v22, v22, v2
	v_mul_f32_e32 v2, 0x3f4f1bbd, v24
	v_fma_f32 v2, v25, s0, -v2
	v_add_f32_e32 v24, v26, v2
	v_sub_f32_e32 v26, v26, v2
	v_mul_i32_i24_e32 v2, 10, v66
	s_mov_b32 s0, 0xcccd
	v_sub_f32_e32 v4, v33, v32
	v_sub_f32_e32 v9, v117, v9
	v_add_f32_e32 v11, v100, v48
	v_add_f32_e32 v12, v39, v49
	v_lshl_add_u32 v36, v2, 3, 0
	v_mul_u32_u24_sdwa v2, v66, s0 dst_sel:DWORD dst_unused:UNUSED_PAD src0_sel:WORD_0 src1_sel:DWORD
	v_sub_f32_e32 v13, v100, v48
	v_sub_f32_e32 v14, v39, v49
	v_add_f32_e32 v19, v23, v29
	v_sub_f32_e32 v21, v23, v29
	v_add_f32_e32 v23, v27, v28
	v_sub_f32_e32 v25, v27, v28
	ds_write2_b64 v38, v[3:4], v[9:10] offset0:8 offset1:9
	ds_write2_b64 v36, v[11:12], v[15:16] offset1:1
	ds_write2_b64 v36, v[19:20], v[5:6] offset0:2 offset1:3
	ds_write2_b64 v36, v[23:24], v[13:14] offset0:4 offset1:5
	;; [unrolled: 1-line block ×4, first 2 shown]
	v_lshrrev_b32_e32 v11, 19, v2
	v_mul_lo_u16_e32 v2, 10, v11
	v_mul_u32_u24_sdwa v6, v92, s0 dst_sel:DWORD dst_unused:UNUSED_PAD src0_sel:WORD_0 src1_sel:DWORD
	v_sub_u16_e32 v12, v66, v2
	v_lshrrev_b32_e32 v9, 19, v6
	v_mul_u32_u24_e32 v2, 5, v12
	v_mul_lo_u16_e32 v6, 10, v9
	v_lshlrev_b32_e32 v13, 3, v2
	v_sub_u16_e32 v10, v92, v6
	s_waitcnt lgkmcnt(0)
	s_barrier
	global_load_dwordx4 v[2:5], v13, s[12:13]
	v_mul_u32_u24_e32 v6, 5, v10
	v_lshlrev_b32_e32 v14, 3, v6
	global_load_dwordx4 v[15:18], v14, s[12:13]
	s_movk_i32 s1, 0xcd
	v_mul_lo_u16_sdwa v6, v0, s1 dst_sel:DWORD dst_unused:UNUSED_PAD src0_sel:BYTE_0 src1_sel:DWORD
	v_lshrrev_b16_e32 v6, 11, v6
	v_mul_lo_u16_e32 v7, 10, v6
	v_sub_u16_e32 v33, v0, v7
	v_mov_b32_e32 v7, 5
	v_mul_u32_u24_sdwa v8, v33, v7 dst_sel:DWORD dst_unused:UNUSED_PAD src0_sel:BYTE_0 src1_sel:DWORD
	v_lshlrev_b32_e32 v19, 3, v8
	global_load_dwordx4 v[27:30], v19, s[12:13]
	v_mul_lo_u16_sdwa v8, v68, s1 dst_sel:DWORD dst_unused:UNUSED_PAD src0_sel:BYTE_0 src1_sel:DWORD
	v_lshrrev_b16_e32 v20, 11, v8
	v_mul_lo_u16_e32 v8, 10, v20
	v_sub_u16_e32 v21, v68, v8
	v_mul_u32_u24_sdwa v7, v21, v7 dst_sel:DWORD dst_unused:UNUSED_PAD src0_sel:BYTE_0 src1_sel:DWORD
	v_lshlrev_b32_e32 v22, 3, v7
	v_mul_u32_u24_sdwa v7, v88, s0 dst_sel:DWORD dst_unused:UNUSED_PAD src0_sel:WORD_0 src1_sel:DWORD
	global_load_dwordx2 v[31:32], v22, s[12:13] offset:32
	global_load_dwordx2 v[116:117], v13, s[12:13] offset:32
	v_lshrrev_b32_e32 v7, 19, v7
	global_load_dwordx2 v[118:119], v14, s[12:13] offset:32
	v_mul_lo_u16_e32 v8, 10, v7
	v_sub_u16_e32 v8, v88, v8
	v_mul_u32_u24_e32 v23, 5, v8
	v_lshlrev_b32_e32 v34, 3, v23
	global_load_dwordx2 v[120:121], v34, s[12:13] offset:32
	global_load_dwordx2 v[122:123], v19, s[12:13] offset:32
	global_load_dwordx4 v[49:52], v34, s[12:13] offset:16
	global_load_dwordx4 v[53:56], v14, s[12:13] offset:16
	;; [unrolled: 1-line block ×4, first 2 shown]
	ds_read2st64_b64 v[42:45], v94 offset0:14 offset1:16
	ds_read2st64_b64 v[96:99], v94 offset0:24 offset1:26
	global_load_dwordx4 v[100:103], v22, s[12:13] offset:16
	v_lshl_add_u32 v37, v86, 3, 0
	v_lshl_add_u32 v35, v70, 3, 0
	;; [unrolled: 1-line block ×4, first 2 shown]
	s_movk_i32 s0, 0xffb8
	v_mul_u32_u24_e32 v20, 0x1e0, v20
	v_mul_u32_u24_e32 v11, 0x1e0, v11
	v_lshlrev_b32_e32 v12, 3, v12
	v_mul_u32_u24_e32 v9, 0x1e0, v9
	v_lshlrev_b32_e32 v10, 3, v10
	s_mov_b32 s1, 0x8889
	s_movk_i32 s5, 0x1e0
	s_movk_i32 s4, 0x1000
	s_add_u32 s6, s12, 0x77b0
	s_addc_u32 s7, s13, 0
	s_waitcnt vmcnt(12) lgkmcnt(1)
	v_mul_f32_e32 v13, v43, v3
	v_mul_f32_e32 v24, v42, v3
	v_fma_f32 v23, v42, v2, -v13
	v_fmac_f32_e32 v24, v43, v2
	s_waitcnt lgkmcnt(0)
	v_mul_f32_e32 v2, v97, v5
	v_fma_f32 v41, v96, v4, -v2
	s_waitcnt vmcnt(11)
	v_mul_f32_e32 v2, v45, v16
	v_mul_f32_e32 v43, v96, v5
	v_fma_f32 v13, v44, v15, -v2
	v_mul_f32_e32 v2, v99, v18
	v_mul_f32_e32 v26, v98, v18
	v_fmac_f32_e32 v43, v97, v4
	v_fma_f32 v25, v98, v17, -v2
	v_fmac_f32_e32 v26, v99, v17
	global_load_dwordx4 v[96:99], v34, s[12:13]
	v_mul_f32_e32 v14, v44, v16
	v_fmac_f32_e32 v14, v45, v15
	ds_read_b64 v[15:16], v37
	ds_read_b64 v[44:45], v35
	;; [unrolled: 1-line block ×4, first 2 shown]
	global_load_dwordx4 v[108:111], v22, s[12:13]
	ds_read2st64_b64 v[112:115], v94 offset0:56 offset1:58
	s_waitcnt vmcnt(12) lgkmcnt(3)
	v_mul_f32_e32 v19, v45, v30
	v_mul_f32_e32 v17, v28, v16
	;; [unrolled: 1-line block ×3, first 2 shown]
	v_fma_f32 v61, v27, v15, -v17
	v_fmac_f32_e32 v124, v27, v16
	ds_read2st64_b64 v[15:18], v94 offset0:52 offset1:54
	v_fma_f32 v34, v44, v29, -v19
	v_mul_f32_e32 v125, v44, v30
	s_waitcnt vmcnt(9) lgkmcnt(1)
	v_mul_f32_e32 v30, v112, v119
	v_fmac_f32_e32 v125, v45, v29
	s_waitcnt lgkmcnt(0)
	v_mul_f32_e32 v19, v16, v32
	v_fma_f32 v126, v15, v31, -v19
	v_mul_f32_e32 v127, v15, v32
	v_mul_f32_e32 v15, v18, v117
	v_fma_f32 v47, v17, v116, -v15
	v_mul_f32_e32 v48, v17, v117
	v_mul_f32_e32 v15, v113, v119
	v_fmac_f32_e32 v127, v16, v31
	v_fmac_f32_e32 v48, v18, v116
	v_fma_f32 v29, v112, v118, -v15
	v_fmac_f32_e32 v30, v113, v118
	ds_read2st64_b64 v[116:119], v94 offset0:48 offset1:50
	s_waitcnt vmcnt(8)
	v_mul_f32_e32 v15, v115, v121
	v_mul_f32_e32 v16, v114, v121
	v_fma_f32 v15, v114, v120, -v15
	v_fmac_f32_e32 v16, v115, v120
	ds_read2st64_b64 v[112:115], v94 offset0:36 offset1:38
	s_waitcnt vmcnt(7) lgkmcnt(1)
	v_mul_f32_e32 v17, v119, v123
	v_fma_f32 v120, v118, v122, -v17
	s_waitcnt vmcnt(6)
	v_mul_f32_e32 v17, v117, v52
	v_mul_f32_e32 v18, v116, v52
	s_waitcnt lgkmcnt(0)
	v_mul_f32_e32 v19, v115, v50
	v_mul_f32_e32 v22, v114, v50
	v_fma_f32 v17, v116, v51, -v17
	v_fmac_f32_e32 v18, v117, v51
	v_fma_f32 v19, v114, v49, -v19
	v_fmac_f32_e32 v22, v115, v49
	ds_read2st64_b64 v[49:52], v94 offset0:44 offset1:46
	s_waitcnt vmcnt(5)
	v_mul_f32_e32 v27, v113, v54
	v_fma_f32 v42, v112, v53, -v27
	v_mul_f32_e32 v44, v112, v54
	v_fmac_f32_e32 v44, v113, v53
	s_waitcnt lgkmcnt(0)
	v_mul_f32_e32 v27, v52, v56
	v_mul_f32_e32 v46, v51, v56
	v_fma_f32 v45, v51, v55, -v27
	v_fmac_f32_e32 v46, v52, v55
	ds_read2st64_b64 v[51:54], v94 offset0:32 offset1:34
	s_waitcnt vmcnt(4)
	v_mul_f32_e32 v27, v50, v60
	v_mul_f32_e32 v60, v49, v60
	v_fma_f32 v112, v49, v59, -v27
	v_fmac_f32_e32 v60, v50, v59
	s_waitcnt lgkmcnt(0)
	v_mul_f32_e32 v27, v54, v58
	v_mul_f32_e32 v50, v53, v58
	v_fma_f32 v49, v53, v57, -v27
	v_fmac_f32_e32 v50, v54, v57
	ds_read2st64_b64 v[53:56], v94 offset0:40 offset1:42
	s_waitcnt vmcnt(2)
	v_mul_f32_e32 v27, v52, v101
	v_fma_f32 v59, v51, v100, -v27
	v_mul_f32_e32 v101, v51, v101
	v_fmac_f32_e32 v101, v52, v100
	s_waitcnt lgkmcnt(0)
	v_mul_f32_e32 v27, v56, v103
	v_mul_f32_e32 v103, v55, v103
	v_fma_f32 v100, v55, v102, -v27
	v_fmac_f32_e32 v103, v56, v102
	ds_read2st64_b64 v[55:58], v94 offset0:28 offset1:30
	v_mul_f32_e32 v27, v54, v107
	v_fma_f32 v102, v53, v106, -v27
	v_mul_f32_e32 v107, v53, v107
	v_fmac_f32_e32 v107, v54, v106
	s_waitcnt lgkmcnt(0)
	v_mul_f32_e32 v27, v58, v105
	v_fma_f32 v106, v57, v104, -v27
	ds_read2st64_b64 v[51:54], v94 offset0:18 offset1:22
	v_mul_f32_e32 v105, v57, v105
	s_waitcnt vmcnt(1)
	v_mul_f32_e32 v27, v56, v99
	v_fma_f32 v28, v55, v98, -v27
	v_mul_f32_e32 v27, v55, v99
	v_fmac_f32_e32 v105, v58, v104
	v_fmac_f32_e32 v27, v56, v98
	ds_read2st64_b64 v[55:58], v94 offset1:12
	s_waitcnt lgkmcnt(1)
	v_mul_f32_e32 v31, v52, v97
	v_fma_f32 v31, v51, v96, -v31
	v_mul_f32_e32 v32, v51, v97
	s_waitcnt vmcnt(0)
	v_mul_f32_e32 v51, v54, v111
	v_fmac_f32_e32 v32, v52, v96
	v_fma_f32 v96, v53, v110, -v51
	s_waitcnt lgkmcnt(0)
	v_mul_f32_e32 v51, v58, v109
	v_fma_f32 v98, v57, v108, -v51
	v_add_f32_e32 v51, v34, v102
	v_mul_f32_e32 v99, v57, v109
	v_fma_f32 v104, -0.5, v51, v55
	v_add_f32_e32 v51, v125, v107
	v_mul_f32_e32 v97, v53, v111
	v_fmac_f32_e32 v99, v58, v108
	v_fma_f32 v108, -0.5, v51, v56
	v_add_f32_e32 v51, v55, v34
	v_mul_f32_e32 v118, v118, v123
	v_fmac_f32_e32 v97, v54, v110
	v_add_f32_e32 v110, v51, v102
	v_add_f32_e32 v51, v106, v120
	v_fmac_f32_e32 v118, v119, v122
	v_sub_f32_e32 v102, v34, v102
	v_add_f32_e32 v34, v61, v106
	v_fmac_f32_e32 v61, -0.5, v51
	v_add_f32_e32 v51, v124, v105
	v_add_f32_e32 v111, v51, v118
	;; [unrolled: 1-line block ×3, first 2 shown]
	v_fmac_f32_e32 v124, -0.5, v51
	v_sub_f32_e32 v106, v106, v120
	v_mov_b32_e32 v51, v124
	v_sub_f32_e32 v113, v105, v118
	v_add_f32_e32 v105, v34, v120
	v_mov_b32_e32 v34, v61
	v_fmac_f32_e32 v51, 0xbf5db3d7, v106
	v_fmac_f32_e32 v34, 0x3f5db3d7, v113
	v_mul_f32_e32 v114, 0x3f5db3d7, v51
	v_add_f32_e32 v52, v56, v125
	v_sub_f32_e32 v109, v125, v107
	v_fmac_f32_e32 v114, 0.5, v34
	v_mul_f32_e32 v115, 0xbf5db3d7, v34
	v_mul_u32_u24_e32 v34, 0x1e0, v6
	v_mov_b32_e32 v6, 3
	v_mov_b32_e32 v117, v104
	v_mov_b32_e32 v118, v108
	v_add_f32_e32 v107, v52, v107
	v_fmac_f32_e32 v115, 0.5, v51
	v_lshlrev_b32_sdwa v33, v6, v33 dst_sel:DWORD dst_unused:UNUSED_PAD src0_sel:DWORD src1_sel:BYTE_0
	v_fmac_f32_e32 v117, 0x3f5db3d7, v109
	v_fmac_f32_e32 v118, 0xbf5db3d7, v102
	v_add3_u32 v116, 0, v34, v33
	v_add_f32_e32 v51, v110, v105
	v_add_f32_e32 v52, v107, v111
	;; [unrolled: 1-line block ×4, first 2 shown]
	v_mad_i32_i24 v34, v68, s0, v38
	v_fmac_f32_e32 v61, 0xbf5db3d7, v113
	v_fmac_f32_e32 v124, 0x3f5db3d7, v106
	v_mad_i32_i24 v33, v66, s0, v36
	ds_read_b64 v[55:56], v34
	ds_read_b64 v[57:58], v33
	s_waitcnt lgkmcnt(0)
	s_barrier
	ds_write2_b64 v116, v[51:52], v[53:54] offset1:10
	v_sub_f32_e32 v51, v110, v105
	v_fmac_f32_e32 v108, 0x3f5db3d7, v102
	v_mul_f32_e32 v102, -0.5, v61
	v_mul_f32_e32 v105, -0.5, v124
	v_fmac_f32_e32 v104, 0xbf5db3d7, v109
	v_fmac_f32_e32 v102, 0x3f5db3d7, v124
	;; [unrolled: 1-line block ×3, first 2 shown]
	v_sub_f32_e32 v52, v107, v111
	v_add_f32_e32 v53, v104, v102
	v_add_f32_e32 v54, v108, v105
	ds_write2_b64 v116, v[53:54], v[51:52] offset0:20 offset1:30
	v_sub_f32_e32 v51, v117, v114
	v_sub_f32_e32 v52, v118, v115
	;; [unrolled: 1-line block ×4, first 2 shown]
	ds_write2_b64 v116, v[51:52], v[53:54] offset0:40 offset1:50
	v_add_f32_e32 v51, v56, v97
	v_add_f32_e32 v53, v51, v103
	v_add_f32_e32 v51, v97, v103
	v_sub_f32_e32 v54, v97, v103
	v_fmac_f32_e32 v56, -0.5, v51
	v_add_f32_e32 v51, v55, v96
	v_add_f32_e32 v97, v59, v126
	v_add_f32_e32 v61, v51, v100
	v_add_f32_e32 v51, v96, v100
	v_sub_f32_e32 v96, v96, v100
	v_add_f32_e32 v52, v98, v59
	v_fmac_f32_e32 v98, -0.5, v97
	v_add_f32_e32 v97, v99, v101
	v_sub_f32_e32 v100, v101, v127
	v_add_f32_e32 v101, v101, v127
	v_fmac_f32_e32 v99, -0.5, v101
	v_add_f32_e32 v101, v52, v126
	v_sub_f32_e32 v59, v59, v126
	v_mov_b32_e32 v52, v98
	v_mov_b32_e32 v102, v99
	v_fmac_f32_e32 v52, 0x3f5db3d7, v100
	v_fmac_f32_e32 v102, 0xbf5db3d7, v59
	v_fma_f32 v55, -0.5, v51, v55
	v_mul_f32_e32 v103, 0x3f5db3d7, v102
	v_mul_f32_e32 v104, 0xbf5db3d7, v52
	v_mov_b32_e32 v105, v55
	v_mov_b32_e32 v106, v56
	v_add_f32_e32 v97, v97, v127
	v_fmac_f32_e32 v103, 0.5, v52
	v_fmac_f32_e32 v104, 0.5, v102
	v_lshlrev_b32_sdwa v21, v6, v21 dst_sel:DWORD dst_unused:UNUSED_PAD src0_sel:DWORD src1_sel:BYTE_0
	v_fmac_f32_e32 v105, 0x3f5db3d7, v54
	v_fmac_f32_e32 v106, 0xbf5db3d7, v96
	v_add3_u32 v102, 0, v20, v21
	v_add_f32_e32 v20, v61, v101
	v_add_f32_e32 v21, v53, v97
	;; [unrolled: 1-line block ×4, first 2 shown]
	v_fmac_f32_e32 v98, 0xbf5db3d7, v100
	v_fmac_f32_e32 v99, 0x3f5db3d7, v59
	ds_write2_b64 v102, v[20:21], v[51:52] offset1:10
	v_sub_f32_e32 v21, v53, v97
	v_fmac_f32_e32 v55, 0xbf5db3d7, v54
	v_mul_f32_e32 v53, -0.5, v98
	v_mul_f32_e32 v54, -0.5, v99
	v_fmac_f32_e32 v56, 0x3f5db3d7, v96
	v_fmac_f32_e32 v53, 0x3f5db3d7, v99
	;; [unrolled: 1-line block ×3, first 2 shown]
	v_sub_f32_e32 v20, v61, v101
	v_add_f32_e32 v51, v55, v53
	v_add_f32_e32 v52, v56, v54
	ds_write2_b64 v102, v[51:52], v[20:21] offset0:20 offset1:30
	v_sub_f32_e32 v21, v56, v54
	v_sub_f32_e32 v20, v55, v53
	;; [unrolled: 1-line block ×4, first 2 shown]
	v_add_f32_e32 v53, v49, v47
	ds_write2_b64 v102, v[51:52], v[20:21] offset0:40 offset1:50
	v_add_f32_e32 v20, v58, v43
	v_add_f32_e32 v21, v23, v49
	v_fmac_f32_e32 v23, -0.5, v53
	v_add_f32_e32 v53, v24, v50
	v_add_f32_e32 v51, v20, v60
	;; [unrolled: 1-line block ×4, first 2 shown]
	v_sub_f32_e32 v54, v50, v48
	v_add_f32_e32 v48, v50, v48
	v_fmac_f32_e32 v58, -0.5, v20
	v_add_f32_e32 v20, v57, v41
	v_fmac_f32_e32 v24, -0.5, v48
	v_sub_f32_e32 v52, v43, v60
	v_add_f32_e32 v43, v20, v112
	v_add_f32_e32 v20, v41, v112
	;; [unrolled: 1-line block ×3, first 2 shown]
	v_sub_f32_e32 v47, v49, v47
	v_mov_b32_e32 v21, v23
	v_mov_b32_e32 v49, v24
	v_sub_f32_e32 v41, v41, v112
	v_fmac_f32_e32 v21, 0x3f5db3d7, v54
	v_fmac_f32_e32 v49, 0xbf5db3d7, v47
	v_fma_f32 v56, -0.5, v20, v57
	v_mov_b32_e32 v59, v58
	v_fmac_f32_e32 v23, 0xbf5db3d7, v54
	v_mul_f32_e32 v50, 0x3f5db3d7, v49
	v_mul_f32_e32 v55, 0xbf5db3d7, v21
	v_mov_b32_e32 v57, v56
	v_fmac_f32_e32 v59, 0xbf5db3d7, v41
	v_fmac_f32_e32 v58, 0x3f5db3d7, v41
	;; [unrolled: 1-line block ×3, first 2 shown]
	v_mul_f32_e32 v41, -0.5, v23
	v_fmac_f32_e32 v50, 0.5, v21
	v_fmac_f32_e32 v55, 0.5, v49
	v_fmac_f32_e32 v57, 0x3f5db3d7, v52
	v_fmac_f32_e32 v41, 0x3f5db3d7, v24
	v_mul_f32_e32 v24, -0.5, v24
	v_add3_u32 v49, 0, v11, v12
	v_add_f32_e32 v11, v43, v48
	v_add_f32_e32 v12, v51, v53
	;; [unrolled: 1-line block ×4, first 2 shown]
	v_fmac_f32_e32 v56, 0xbf5db3d7, v52
	v_fmac_f32_e32 v24, 0xbf5db3d7, v23
	ds_write2_b64 v49, v[11:12], v[20:21] offset1:10
	v_sub_f32_e32 v11, v43, v48
	v_sub_f32_e32 v12, v51, v53
	v_add_f32_e32 v20, v56, v41
	v_add_f32_e32 v21, v58, v24
	ds_write2_b64 v49, v[20:21], v[11:12] offset0:20 offset1:30
	v_sub_f32_e32 v12, v58, v24
	v_sub_f32_e32 v11, v56, v41
	;; [unrolled: 1-line block ×4, first 2 shown]
	ds_write2_b64 v49, v[20:21], v[11:12] offset0:40 offset1:50
	v_add_f32_e32 v11, v5, v26
	v_add_f32_e32 v20, v11, v46
	;; [unrolled: 1-line block ×3, first 2 shown]
	v_fmac_f32_e32 v5, -0.5, v11
	v_add_f32_e32 v11, v4, v25
	v_add_f32_e32 v23, v11, v45
	;; [unrolled: 1-line block ×3, first 2 shown]
	v_sub_f32_e32 v24, v25, v45
	v_add_f32_e32 v25, v42, v29
	v_add_f32_e32 v12, v13, v42
	v_fmac_f32_e32 v13, -0.5, v25
	v_add_f32_e32 v25, v14, v44
	v_sub_f32_e32 v21, v26, v46
	v_add_f32_e32 v25, v25, v30
	v_sub_f32_e32 v26, v44, v30
	v_add_f32_e32 v30, v44, v30
	v_fmac_f32_e32 v14, -0.5, v30
	v_add_f32_e32 v30, v12, v29
	v_sub_f32_e32 v29, v42, v29
	v_mov_b32_e32 v12, v13
	v_mov_b32_e32 v41, v14
	v_fmac_f32_e32 v12, 0x3f5db3d7, v26
	v_fmac_f32_e32 v41, 0xbf5db3d7, v29
	v_fma_f32 v4, -0.5, v11, v4
	v_mul_f32_e32 v42, 0x3f5db3d7, v41
	v_mul_f32_e32 v43, 0xbf5db3d7, v12
	v_mov_b32_e32 v44, v4
	v_mov_b32_e32 v45, v5
	v_fmac_f32_e32 v42, 0.5, v12
	v_fmac_f32_e32 v43, 0.5, v41
	v_fmac_f32_e32 v44, 0x3f5db3d7, v21
	v_fmac_f32_e32 v45, 0xbf5db3d7, v24
	v_add3_u32 v41, 0, v9, v10
	v_add_f32_e32 v9, v23, v30
	v_add_f32_e32 v10, v20, v25
	;; [unrolled: 1-line block ×4, first 2 shown]
	v_fmac_f32_e32 v13, 0xbf5db3d7, v26
	ds_write2_b64 v41, v[9:10], v[11:12] offset1:10
	v_sub_f32_e32 v10, v20, v25
	v_fmac_f32_e32 v14, 0x3f5db3d7, v29
	v_mul_f32_e32 v20, -0.5, v13
	v_fmac_f32_e32 v20, 0x3f5db3d7, v14
	v_mul_f32_e32 v14, -0.5, v14
	v_fmac_f32_e32 v4, 0xbf5db3d7, v21
	v_fmac_f32_e32 v5, 0x3f5db3d7, v24
	;; [unrolled: 1-line block ×3, first 2 shown]
	v_sub_f32_e32 v9, v23, v30
	v_add_f32_e32 v11, v4, v20
	v_add_f32_e32 v12, v5, v14
	ds_write2_b64 v41, v[11:12], v[9:10] offset0:20 offset1:30
	v_sub_f32_e32 v5, v5, v14
	v_sub_f32_e32 v4, v4, v20
	;; [unrolled: 1-line block ×4, first 2 shown]
	v_add_f32_e32 v11, v27, v18
	v_add_f32_e32 v13, v3, v27
	v_fmac_f32_e32 v3, -0.5, v11
	v_add_f32_e32 v11, v19, v15
	ds_write2_b64 v41, v[9:10], v[4:5] offset0:40 offset1:50
	v_lshlrev_b32_e32 v5, 3, v8
	v_mul_u32_u24_sdwa v8, v88, s1 dst_sel:DWORD dst_unused:UNUSED_PAD src0_sel:WORD_0 src1_sel:DWORD
	v_add_f32_e32 v14, v31, v19
	v_fmac_f32_e32 v31, -0.5, v11
	v_add_f32_e32 v11, v22, v16
	v_lshrrev_b32_e32 v105, 21, v8
	v_add_f32_e32 v20, v32, v22
	v_fmac_f32_e32 v32, -0.5, v11
	v_mul_lo_u16_e32 v9, 60, v105
	v_sub_f32_e32 v21, v22, v16
	v_mov_b32_e32 v22, v31
	v_sub_f32_e32 v19, v19, v15
	v_mov_b32_e32 v23, v32
	v_add_f32_e32 v12, v28, v17
	v_sub_u16_e32 v9, v88, v9
	v_fmac_f32_e32 v31, 0xbf5db3d7, v21
	v_fma_f32 v25, -0.5, v12, v2
	v_fmac_f32_e32 v22, 0x3f5db3d7, v21
	v_fmac_f32_e32 v23, 0xbf5db3d7, v19
	v_lshlrev_b32_e32 v106, 3, v9
	v_mul_u32_u24_sdwa v9, v86, s1 dst_sel:DWORD dst_unused:UNUSED_PAD src0_sel:WORD_0 src1_sel:DWORD
	v_fmac_f32_e32 v32, 0x3f5db3d7, v19
	v_mul_f32_e32 v24, -0.5, v31
	v_add_f32_e32 v26, v2, v28
	v_sub_f32_e32 v28, v28, v17
	v_mov_b32_e32 v29, v3
	v_sub_f32_e32 v27, v27, v18
	v_mov_b32_e32 v30, v25
	v_add_f32_e32 v16, v20, v16
	v_mul_f32_e32 v19, 0x3f5db3d7, v23
	v_mul_f32_e32 v20, 0xbf5db3d7, v22
	v_lshrrev_b32_e32 v107, 21, v9
	v_fmac_f32_e32 v24, 0x3f5db3d7, v32
	v_mul_f32_e32 v11, -0.5, v32
	v_fmac_f32_e32 v25, 0xbf5db3d7, v27
	v_add_f32_e32 v17, v26, v17
	v_add_f32_e32 v18, v13, v18
	;; [unrolled: 1-line block ×3, first 2 shown]
	v_fmac_f32_e32 v30, 0x3f5db3d7, v27
	v_fmac_f32_e32 v29, 0xbf5db3d7, v28
	v_fmac_f32_e32 v19, 0.5, v22
	v_fmac_f32_e32 v20, 0.5, v23
	v_mul_u32_u24_e32 v4, 0x1e0, v7
	v_mul_lo_u16_e32 v10, 60, v107
	v_fmac_f32_e32 v11, 0xbf5db3d7, v31
	v_fmac_f32_e32 v3, 0x3f5db3d7, v28
	v_sub_f32_e32 v2, v25, v24
	v_add_f32_e32 v13, v17, v15
	v_add_f32_e32 v14, v18, v16
	v_sub_f32_e32 v15, v17, v15
	v_sub_f32_e32 v16, v18, v16
	v_add_f32_e32 v17, v30, v19
	v_add_f32_e32 v18, v29, v20
	v_add3_u32 v4, 0, v4, v5
	s_movk_i32 s0, 0x89
	v_sub_u16_e32 v10, v86, v10
	v_add_f32_e32 v12, v3, v11
	v_sub_f32_e32 v3, v3, v11
	v_add_f32_e32 v11, v25, v24
	v_sub_f32_e32 v19, v30, v19
	v_sub_f32_e32 v20, v29, v20
	ds_write2_b64 v4, v[13:14], v[17:18] offset1:10
	ds_write2_b64 v4, v[11:12], v[15:16] offset0:20 offset1:30
	ds_write2_b64 v4, v[19:20], v[2:3] offset0:40 offset1:50
	v_mul_lo_u16_sdwa v2, v68, s0 dst_sel:DWORD dst_unused:UNUSED_PAD src0_sel:BYTE_0 src1_sel:DWORD
	v_lshlrev_b32_e32 v108, 3, v10
	v_mul_u32_u24_sdwa v10, v90, s1 dst_sel:DWORD dst_unused:UNUSED_PAD src0_sel:WORD_0 src1_sel:DWORD
	v_lshrrev_b16_e32 v61, 13, v2
	v_lshrrev_b32_e32 v109, 21, v10
	v_mul_lo_u16_e32 v3, 60, v61
	v_mul_lo_u16_e32 v11, 60, v109
	v_sub_u16_e32 v3, v68, v3
	v_sub_u16_e32 v11, v90, v11
	v_lshlrev_b32_sdwa v100, v6, v3 dst_sel:DWORD dst_unused:UNUSED_PAD src0_sel:DWORD src1_sel:BYTE_0
	v_mul_u32_u24_sdwa v3, v66, s1 dst_sel:DWORD dst_unused:UNUSED_PAD src0_sel:WORD_0 src1_sel:DWORD
	v_lshlrev_b32_e32 v110, 3, v11
	v_mul_u32_u24_sdwa v11, v80, s1 dst_sel:DWORD dst_unused:UNUSED_PAD src0_sel:WORD_0 src1_sel:DWORD
	v_lshrrev_b32_e32 v101, 21, v3
	v_lshrrev_b32_e32 v111, 21, v11
	v_mul_lo_u16_e32 v4, 60, v101
	v_mul_u32_u24_sdwa v7, v92, s1 dst_sel:DWORD dst_unused:UNUSED_PAD src0_sel:WORD_0 src1_sel:DWORD
	v_mul_lo_u16_e32 v12, 60, v111
	v_mul_u32_u24_sdwa v13, v74, s1 dst_sel:DWORD dst_unused:UNUSED_PAD src0_sel:WORD_0 src1_sel:DWORD
	v_sub_u16_e32 v4, v66, v4
	v_lshrrev_b32_e32 v103, 21, v7
	v_sub_u16_e32 v12, v80, v12
	v_lshrrev_b32_e32 v113, 21, v13
	v_lshlrev_b32_e32 v102, 3, v4
	v_mul_lo_u16_e32 v4, 60, v103
	v_lshlrev_b32_e32 v112, 3, v12
	v_mul_lo_u16_e32 v12, 60, v113
	v_mul_u32_u24_sdwa v14, v72, s1 dst_sel:DWORD dst_unused:UNUSED_PAD src0_sel:WORD_0 src1_sel:DWORD
	v_sub_u16_e32 v4, v92, v4
	v_sub_u16_e32 v12, v74, v12
	v_lshrrev_b32_e32 v115, 21, v14
	s_waitcnt lgkmcnt(0)
	s_barrier
	v_lshlrev_b32_e32 v104, 3, v4
	global_load_dwordx2 v[4:5], v100, s[12:13] offset:400
	global_load_dwordx2 v[27:28], v102, s[12:13] offset:400
	;; [unrolled: 1-line block ×3, first 2 shown]
	v_lshlrev_b32_e32 v114, 3, v12
	v_mul_lo_u16_e32 v12, 60, v115
	v_mul_u32_u24_sdwa v15, v70, s1 dst_sel:DWORD dst_unused:UNUSED_PAD src0_sel:WORD_0 src1_sel:DWORD
	v_sub_u16_e32 v12, v72, v12
	v_lshrrev_b32_e32 v117, 21, v15
	v_lshlrev_b32_e32 v116, 3, v12
	v_mul_lo_u16_e32 v12, 60, v117
	v_sub_u16_e32 v12, v70, v12
	v_lshlrev_b32_e32 v118, 3, v12
	v_mul_u32_u24_sdwa v12, v82, s1 dst_sel:DWORD dst_unused:UNUSED_PAD src0_sel:WORD_0 src1_sel:DWORD
	v_lshrrev_b32_e32 v119, 21, v12
	v_mul_lo_u16_e32 v16, 60, v119
	v_sub_u16_e32 v16, v82, v16
	global_load_dwordx2 v[31:32], v106, s[12:13] offset:400
	global_load_dwordx2 v[41:42], v108, s[12:13] offset:400
	global_load_dwordx2 v[43:44], v110, s[12:13] offset:400
	global_load_dwordx2 v[45:46], v112, s[12:13] offset:400
	v_lshlrev_b32_e32 v120, 3, v16
	v_mul_u32_u24_sdwa v16, v78, s1 dst_sel:DWORD dst_unused:UNUSED_PAD src0_sel:WORD_0 src1_sel:DWORD
	v_lshrrev_b32_e32 v121, 21, v16
	v_mul_lo_u16_e32 v17, 60, v121
	v_sub_u16_e32 v17, v78, v17
	global_load_dwordx2 v[47:48], v114, s[12:13] offset:400
	global_load_dwordx2 v[49:50], v116, s[12:13] offset:400
	v_lshlrev_b32_e32 v122, 3, v17
	v_mul_u32_u24_sdwa v17, v76, s1 dst_sel:DWORD dst_unused:UNUSED_PAD src0_sel:WORD_0 src1_sel:DWORD
	v_lshrrev_b32_e32 v123, 21, v17
	v_mul_lo_u16_e32 v18, 60, v123
	v_sub_u16_e32 v18, v76, v18
	v_lshlrev_b32_e32 v124, 3, v18
	v_mul_u32_u24_sdwa v18, v84, s1 dst_sel:DWORD dst_unused:UNUSED_PAD src0_sel:WORD_0 src1_sel:DWORD
	v_lshrrev_b32_e32 v125, 21, v18
	global_load_dwordx2 v[51:52], v118, s[12:13] offset:400
	global_load_dwordx2 v[53:54], v120, s[12:13] offset:400
	v_mul_lo_u16_e32 v19, 60, v125
	global_load_dwordx2 v[55:56], v122, s[12:13] offset:400
	global_load_dwordx2 v[57:58], v124, s[12:13] offset:400
	v_sub_u16_e32 v19, v84, v19
	v_lshlrev_b32_e32 v126, 3, v19
	global_load_dwordx2 v[59:60], v126, s[12:13] offset:400
	v_mul_lo_u16_sdwa v19, v0, s0 dst_sel:DWORD dst_unused:UNUSED_PAD src0_sel:BYTE_0 src1_sel:DWORD
	v_lshrrev_b16_e32 v98, 13, v19
	v_mul_lo_u16_e32 v19, 60, v98
	v_sub_u16_e32 v19, v0, v19
	v_lshlrev_b32_sdwa v99, v6, v19 dst_sel:DWORD dst_unused:UNUSED_PAD src0_sel:DWORD src1_sel:BYTE_0
	global_load_dwordx2 v[96:97], v99, s[12:13] offset:400
	ds_read2st64_b64 v[19:22], v94 offset0:32 offset1:34
	s_movk_i32 s0, 0x78
	v_cmp_gt_u32_e64 s[0:1], s0, v0
	s_waitcnt vmcnt(14) lgkmcnt(0)
	v_mul_f32_e32 v23, v5, v20
	v_fma_f32 v127, v4, v19, -v23
	ds_read2st64_b64 v[23:26], v94 offset0:36 offset1:38
	v_mul_f32_e32 v128, v5, v19
	v_fmac_f32_e32 v128, v4, v20
	s_waitcnt vmcnt(13)
	v_mul_f32_e32 v4, v22, v28
	v_mul_f32_e32 v130, v21, v28
	v_fma_f32 v129, v21, v27, -v4
	v_fmac_f32_e32 v130, v22, v27
	s_waitcnt vmcnt(12) lgkmcnt(0)
	v_mul_f32_e32 v4, v24, v30
	ds_read2st64_b64 v[19:22], v94 offset0:40 offset1:42
	v_fma_f32 v131, v23, v29, -v4
	v_mul_f32_e32 v132, v23, v30
	s_waitcnt vmcnt(11)
	v_mul_f32_e32 v4, v26, v32
	v_mul_f32_e32 v134, v25, v32
	v_fmac_f32_e32 v132, v24, v29
	v_fma_f32 v133, v25, v31, -v4
	v_fmac_f32_e32 v134, v26, v31
	ds_read2st64_b64 v[23:26], v94 offset0:44 offset1:46
	s_waitcnt vmcnt(10) lgkmcnt(1)
	v_mul_f32_e32 v4, v20, v42
	v_fma_f32 v135, v19, v41, -v4
	v_mul_f32_e32 v136, v19, v42
	s_waitcnt vmcnt(9)
	v_mul_f32_e32 v4, v22, v44
	v_mul_f32_e32 v138, v21, v44
	v_fmac_f32_e32 v136, v20, v41
	v_fma_f32 v137, v21, v43, -v4
	v_fmac_f32_e32 v138, v22, v43
	s_waitcnt vmcnt(8) lgkmcnt(0)
	v_mul_f32_e32 v4, v24, v46
	ds_read2st64_b64 v[19:22], v94 offset0:48 offset1:50
	v_fma_f32 v139, v23, v45, -v4
	v_mul_f32_e32 v140, v23, v46
	s_waitcnt vmcnt(7)
	v_mul_f32_e32 v4, v26, v48
	v_mul_f32_e32 v142, v25, v48
	v_fmac_f32_e32 v140, v24, v45
	v_fma_f32 v141, v25, v47, -v4
	v_fmac_f32_e32 v142, v26, v47
	ds_read2st64_b64 v[23:26], v94 offset0:52 offset1:54
	s_waitcnt vmcnt(6) lgkmcnt(1)
	v_mul_f32_e32 v4, v20, v50
	v_fma_f32 v143, v19, v49, -v4
	v_mul_f32_e32 v144, v19, v50
	s_waitcnt vmcnt(5)
	v_mul_f32_e32 v4, v22, v52
	v_mul_f32_e32 v146, v21, v52
	v_fmac_f32_e32 v144, v20, v49
	v_fma_f32 v145, v21, v51, -v4
	v_fmac_f32_e32 v146, v22, v51
	s_waitcnt vmcnt(4) lgkmcnt(0)
	v_mul_f32_e32 v4, v24, v54
	ds_read2st64_b64 v[19:22], v94 offset0:56 offset1:58
	v_fma_f32 v147, v23, v53, -v4
	v_mul_f32_e32 v148, v23, v54
	s_waitcnt vmcnt(3)
	v_mul_f32_e32 v4, v26, v56
	v_mul_f32_e32 v150, v25, v56
	v_fmac_f32_e32 v148, v24, v53
	v_fma_f32 v149, v25, v55, -v4
	v_fmac_f32_e32 v150, v26, v55
	ds_read2st64_b64 v[23:26], v94 offset1:30
	s_waitcnt vmcnt(2) lgkmcnt(1)
	v_mul_f32_e32 v4, v20, v58
	v_fma_f32 v151, v19, v57, -v4
	s_waitcnt vmcnt(1)
	v_mul_f32_e32 v4, v22, v60
	v_fma_f32 v153, v21, v59, -v4
	s_waitcnt vmcnt(0) lgkmcnt(0)
	v_mul_f32_e32 v4, v97, v26
	v_mul_f32_e32 v5, v97, v25
	v_fma_f32 v4, v96, v25, -v4
	v_fmac_f32_e32 v5, v96, v26
	v_mul_f32_e32 v152, v19, v58
	v_mul_f32_e32 v154, v21, v60
	v_sub_f32_e32 v4, v23, v4
	v_sub_f32_e32 v5, v24, v5
	v_mul_u32_u24_e32 v21, 0x3c0, v98
	v_fmac_f32_e32 v152, v20, v57
	v_fma_f32 v19, v23, 2.0, -v4
	v_fma_f32 v20, v24, 2.0, -v5
	v_add3_u32 v155, 0, v21, v99
	v_fmac_f32_e32 v154, v22, v59
	v_lshl_add_u32 v48, v90, 3, 0
	v_lshl_add_u32 v47, v80, 3, 0
	;; [unrolled: 1-line block ×8, first 2 shown]
	ds_read_b64 v[21:22], v34
	ds_read_b64 v[23:24], v33
	;; [unrolled: 1-line block ×14, first 2 shown]
	s_waitcnt lgkmcnt(0)
	s_barrier
	ds_write2_b64 v155, v[19:20], v[4:5] offset1:60
	v_sub_f32_e32 v4, v21, v127
	v_sub_f32_e32 v5, v22, v128
	v_fma_f32 v19, v21, 2.0, -v4
	v_mul_u32_u24_e32 v21, 0x3c0, v61
	v_fma_f32 v20, v22, 2.0, -v5
	v_add3_u32 v21, 0, v21, v100
	ds_write2_b64 v21, v[19:20], v[4:5] offset1:60
	v_sub_f32_e32 v4, v23, v129
	v_sub_f32_e32 v5, v24, v130
	v_mul_u32_u24_e32 v21, 0x3c0, v101
	v_fma_f32 v19, v23, 2.0, -v4
	v_fma_f32 v20, v24, 2.0, -v5
	v_add3_u32 v21, 0, v21, v102
	ds_write2_b64 v21, v[19:20], v[4:5] offset1:60
	v_sub_f32_e32 v4, v53, v131
	v_sub_f32_e32 v5, v54, v132
	v_mul_u32_u24_e32 v21, 0x3c0, v103
	v_fma_f32 v19, v53, 2.0, -v4
	;; [unrolled: 7-line block ×6, first 2 shown]
	v_fma_f32 v20, v30, 2.0, -v5
	v_add3_u32 v21, 0, v21, v112
	ds_write2_b64 v21, v[19:20], v[4:5] offset1:60
	v_sub_f32_e32 v4, v31, v141
	v_sub_f32_e32 v5, v32, v142
	v_mul_u32_u24_e32 v21, 0x3c0, v113
	v_lshrrev_b16_e32 v106, 14, v2
	v_fma_f32 v19, v31, 2.0, -v4
	v_fma_f32 v20, v32, 2.0, -v5
	v_add3_u32 v21, 0, v21, v114
	v_mul_lo_u16_e32 v2, 0x78, v106
	ds_write2_b64 v21, v[19:20], v[4:5] offset1:60
	v_sub_f32_e32 v4, v49, v143
	v_sub_f32_e32 v5, v50, v144
	v_mul_u32_u24_e32 v21, 0x3c0, v115
	v_sub_u16_e32 v2, v68, v2
	v_lshrrev_b32_e32 v108, 22, v3
	v_fma_f32 v19, v49, 2.0, -v4
	v_fma_f32 v20, v50, 2.0, -v5
	v_add3_u32 v21, 0, v21, v116
	v_lshlrev_b32_sdwa v107, v6, v2 dst_sel:DWORD dst_unused:UNUSED_PAD src0_sel:DWORD src1_sel:BYTE_0
	v_mul_lo_u16_e32 v2, 0x78, v108
	ds_write2_b64 v21, v[19:20], v[4:5] offset1:60
	v_sub_f32_e32 v4, v55, v145
	v_sub_f32_e32 v5, v56, v146
	v_mul_u32_u24_e32 v21, 0x3c0, v117
	v_sub_u16_e32 v2, v66, v2
	v_lshrrev_b32_e32 v110, 22, v7
	v_fma_f32 v19, v55, 2.0, -v4
	v_fma_f32 v20, v56, 2.0, -v5
	v_add3_u32 v21, 0, v21, v118
	v_lshlrev_b32_e32 v109, 3, v2
	v_mul_lo_u16_e32 v2, 0x78, v110
	ds_write2_b64 v21, v[19:20], v[4:5] offset1:60
	v_sub_f32_e32 v4, v57, v147
	v_sub_f32_e32 v5, v58, v148
	v_mul_u32_u24_e32 v21, 0x3c0, v119
	v_sub_u16_e32 v2, v92, v2
	v_lshrrev_b32_e32 v112, 22, v8
	v_fma_f32 v19, v57, 2.0, -v4
	v_fma_f32 v20, v58, 2.0, -v5
	v_add3_u32 v21, 0, v21, v120
	v_lshlrev_b32_e32 v111, 3, v2
	;; [unrolled: 11-line block ×5, first 2 shown]
	v_mul_lo_u16_e32 v2, 0x78, v118
	ds_write2_b64 v21, v[19:20], v[4:5] offset1:60
	s_waitcnt lgkmcnt(0)
	s_barrier
	global_load_dwordx2 v[5:6], v107, s[12:13] offset:880
	global_load_dwordx2 v[27:28], v109, s[12:13] offset:880
	;; [unrolled: 1-line block ×3, first 2 shown]
	v_sub_u16_e32 v2, v80, v2
	v_lshrrev_b32_e32 v120, 22, v13
	v_lshlrev_b32_e32 v119, 3, v2
	v_mul_lo_u16_e32 v2, 0x78, v120
	v_sub_u16_e32 v2, v74, v2
	v_lshrrev_b32_e32 v122, 22, v14
	v_lshlrev_b32_e32 v121, 3, v2
	v_mul_lo_u16_e32 v2, 0x78, v122
	global_load_dwordx2 v[31:32], v113, s[12:13] offset:880
	global_load_dwordx2 v[50:51], v115, s[12:13] offset:880
	;; [unrolled: 1-line block ×4, first 2 shown]
	v_sub_u16_e32 v2, v72, v2
	v_lshrrev_b32_e32 v124, 22, v15
	v_lshlrev_b32_e32 v123, 3, v2
	v_mul_lo_u16_e32 v2, 0x78, v124
	v_sub_u16_e32 v2, v70, v2
	v_lshrrev_b32_e32 v126, 22, v12
	v_lshlrev_b32_e32 v125, 3, v2
	v_mul_lo_u16_e32 v2, 0x78, v126
	v_sub_u16_e32 v2, v82, v2
	global_load_dwordx2 v[56:57], v121, s[12:13] offset:880
	v_lshrrev_b32_e32 v128, 22, v16
	v_lshlrev_b32_e32 v127, 3, v2
	v_mul_lo_u16_e32 v2, 0x78, v128
	v_sub_u16_e32 v2, v78, v2
	v_lshrrev_b32_e32 v130, 22, v17
	v_lshlrev_b32_e32 v129, 3, v2
	v_mul_lo_u16_e32 v2, 0x78, v130
	v_sub_u16_e32 v2, v76, v2
	v_lshrrev_b32_e32 v132, 22, v18
	v_lshlrev_b32_e32 v131, 3, v2
	v_mul_lo_u16_e32 v2, 0x78, v132
	global_load_dwordx2 v[58:59], v123, s[12:13] offset:880
	global_load_dwordx2 v[60:61], v125, s[12:13] offset:880
	;; [unrolled: 1-line block ×3, first 2 shown]
	v_sub_u16_e32 v2, v84, v2
	v_lshlrev_b32_e32 v133, 3, v2
	v_add_u32_e32 v2, 0xffffff88, v0
	v_cndmask_b32_e64 v3, v2, v0, s[0:1]
	v_mov_b32_e32 v4, 0
	global_load_dwordx2 v[98:99], v129, s[12:13] offset:880
	global_load_dwordx2 v[100:101], v131, s[12:13] offset:880
	;; [unrolled: 1-line block ×3, first 2 shown]
	v_lshlrev_b64 v[19:20], 3, v[3:4]
	v_mov_b32_e32 v49, s13
	v_add_co_u32_e64 v19, s[0:1], s12, v19
	v_addc_co_u32_e64 v20, s[0:1], v49, v20, s[0:1]
	global_load_dwordx2 v[104:105], v[19:20], off offset:880
	ds_read2st64_b64 v[19:22], v94 offset0:32 offset1:34
	ds_read2st64_b64 v[23:26], v94 offset0:36 offset1:38
	s_movk_i32 s0, 0x77
	v_cmp_lt_u32_e64 s[0:1], s0, v0
	v_lshlrev_b32_e32 v3, 3, v3
	s_waitcnt vmcnt(14) lgkmcnt(1)
	v_mul_f32_e32 v2, v6, v20
	v_fma_f32 v134, v5, v19, -v2
	v_mul_f32_e32 v135, v6, v19
	s_waitcnt vmcnt(13)
	v_mul_f32_e32 v2, v28, v22
	v_mul_f32_e32 v137, v28, v21
	v_fmac_f32_e32 v135, v5, v20
	v_fma_f32 v136, v27, v21, -v2
	v_fmac_f32_e32 v137, v27, v22
	s_waitcnt vmcnt(12) lgkmcnt(0)
	v_mul_f32_e32 v2, v24, v30
	ds_read2st64_b64 v[19:22], v94 offset0:40 offset1:42
	v_fma_f32 v138, v23, v29, -v2
	v_mul_f32_e32 v139, v23, v30
	s_waitcnt vmcnt(11)
	v_mul_f32_e32 v2, v26, v32
	v_mul_f32_e32 v141, v25, v32
	v_fmac_f32_e32 v139, v24, v29
	v_fma_f32 v140, v25, v31, -v2
	v_fmac_f32_e32 v141, v26, v31
	ds_read2st64_b64 v[23:26], v94 offset0:44 offset1:46
	s_waitcnt vmcnt(10) lgkmcnt(1)
	v_mul_f32_e32 v2, v20, v51
	v_fma_f32 v142, v19, v50, -v2
	v_mul_f32_e32 v143, v19, v51
	s_waitcnt vmcnt(9)
	v_mul_f32_e32 v2, v22, v53
	v_mul_f32_e32 v145, v21, v53
	v_fmac_f32_e32 v143, v20, v50
	v_fma_f32 v144, v21, v52, -v2
	v_fmac_f32_e32 v145, v22, v52
	s_waitcnt vmcnt(8) lgkmcnt(0)
	v_mul_f32_e32 v2, v24, v55
	ds_read2st64_b64 v[19:22], v94 offset0:48 offset1:50
	v_fma_f32 v146, v23, v54, -v2
	v_mul_f32_e32 v147, v23, v55
	s_waitcnt vmcnt(7)
	v_mul_f32_e32 v2, v26, v57
	v_mul_f32_e32 v149, v25, v57
	v_fmac_f32_e32 v147, v24, v54
	v_fma_f32 v148, v25, v56, -v2
	v_fmac_f32_e32 v149, v26, v56
	ds_read2st64_b64 v[23:26], v94 offset0:52 offset1:54
	s_waitcnt vmcnt(6) lgkmcnt(1)
	v_mul_f32_e32 v2, v20, v59
	v_fma_f32 v150, v19, v58, -v2
	v_mul_f32_e32 v151, v19, v59
	s_waitcnt vmcnt(5)
	v_mul_f32_e32 v2, v22, v61
	v_mul_f32_e32 v153, v21, v61
	v_fmac_f32_e32 v151, v20, v58
	v_fma_f32 v152, v21, v60, -v2
	v_fmac_f32_e32 v153, v22, v60
	s_waitcnt vmcnt(4) lgkmcnt(0)
	v_mul_f32_e32 v2, v24, v97
	ds_read2st64_b64 v[19:22], v94 offset0:56 offset1:58
	v_fma_f32 v154, v23, v96, -v2
	v_mul_f32_e32 v155, v23, v97
	s_waitcnt vmcnt(3)
	v_mul_f32_e32 v2, v26, v99
	v_mul_f32_e32 v99, v25, v99
	v_fmac_f32_e32 v155, v24, v96
	v_fma_f32 v156, v25, v98, -v2
	v_fmac_f32_e32 v99, v26, v98
	ds_read2st64_b64 v[23:26], v94 offset1:30
	s_waitcnt vmcnt(2) lgkmcnt(1)
	v_mul_f32_e32 v2, v20, v101
	v_fma_f32 v98, v19, v100, -v2
	v_mul_f32_e32 v101, v19, v101
	s_waitcnt vmcnt(1)
	v_mul_f32_e32 v2, v22, v103
	v_fmac_f32_e32 v101, v20, v100
	v_fma_f32 v100, v21, v102, -v2
	s_waitcnt vmcnt(0) lgkmcnt(0)
	v_mul_f32_e32 v2, v105, v26
	v_fma_f32 v2, v104, v25, -v2
	v_mul_f32_e32 v6, v105, v25
	v_fmac_f32_e32 v6, v104, v26
	v_sub_f32_e32 v5, v23, v2
	v_mov_b32_e32 v2, 0x780
	v_mul_f32_e32 v103, v21, v103
	v_sub_f32_e32 v6, v24, v6
	v_cndmask_b32_e64 v2, 0, v2, s[0:1]
	v_fmac_f32_e32 v103, v22, v102
	v_fma_f32 v19, v23, 2.0, -v5
	v_fma_f32 v20, v24, 2.0, -v6
	v_add3_u32 v102, 0, v2, v3
	ds_read_b64 v[2:3], v34
	ds_read_b64 v[21:22], v33
	;; [unrolled: 1-line block ×14, first 2 shown]
	s_waitcnt lgkmcnt(0)
	s_barrier
	ds_write2_b64 v102, v[19:20], v[5:6] offset1:120
	v_sub_f32_e32 v5, v2, v134
	v_sub_f32_e32 v6, v3, v135
	v_mul_u32_u24_e32 v19, 0x780, v106
	v_fma_f32 v2, v2, 2.0, -v5
	v_fma_f32 v3, v3, 2.0, -v6
	v_add3_u32 v19, 0, v19, v107
	ds_write2_b64 v19, v[2:3], v[5:6] offset1:120
	v_sub_f32_e32 v2, v21, v136
	v_sub_f32_e32 v3, v22, v137
	v_mul_u32_u24_e32 v19, 0x780, v108
	v_fma_f32 v5, v21, 2.0, -v2
	v_fma_f32 v6, v22, 2.0, -v3
	v_add3_u32 v19, 0, v19, v109
	;; [unrolled: 7-line block ×14, first 2 shown]
	s_movk_i32 s0, 0xf0
	ds_write2_b64 v19, v[5:6], v[2:3] offset1:120
	v_add_u32_e32 v2, 0xffffff90, v0
	v_cmp_gt_u32_e64 s[0:1], s0, v68
	v_cndmask_b32_e64 v3, v2, v68, s[0:1]
	v_lshlrev_b64 v[5:6], 3, v[3:4]
	s_waitcnt lgkmcnt(0)
	v_add_co_u32_e64 v19, s[0:1], s12, v5
	v_addc_co_u32_e64 v20, s[0:1], v49, v6, s[0:1]
	s_barrier
	global_load_dwordx2 v[19:20], v[19:20], off offset:1840
	v_lshrrev_b32_e32 v102, 23, v7
	v_lshlrev_b64 v[1:2], 3, v[0:1]
	v_mul_lo_u16_e32 v7, 0xf0, v102
	v_sub_u16_e32 v7, v92, v7
	v_add_co_u32_e64 v5, s[0:1], s12, v1
	v_lshlrev_b32_e32 v103, 3, v7
	v_addc_co_u32_e64 v6, s[0:1], v49, v2, s[0:1]
	global_load_dwordx2 v[23:24], v103, s[12:13] offset:1840
	global_load_dwordx2 v[25:26], v[5:6], off offset:1968
	v_lshrrev_b32_e32 v7, 23, v8
	v_mul_lo_u16_e32 v7, 0xf0, v7
	v_sub_u16_e32 v7, v88, v7
	v_lshrrev_b32_e32 v105, 23, v9
	v_lshlrev_b32_e32 v104, 3, v7
	v_mul_lo_u16_e32 v7, 0xf0, v105
	v_sub_u16_e32 v7, v86, v7
	v_lshlrev_b32_e32 v106, 3, v7
	global_load_dwordx2 v[27:28], v104, s[12:13] offset:1840
	global_load_dwordx2 v[29:30], v106, s[12:13] offset:1840
	v_lshrrev_b32_e32 v7, 23, v10
	v_mul_lo_u16_e32 v7, 0xf0, v7
	v_sub_u16_e32 v7, v90, v7
	v_lshrrev_b32_e32 v108, 23, v11
	v_lshlrev_b32_e32 v107, 3, v7
	v_mul_lo_u16_e32 v7, 0xf0, v108
	v_sub_u16_e32 v7, v80, v7
	v_lshlrev_b32_e32 v109, 3, v7
	global_load_dwordx2 v[31:32], v107, s[12:13] offset:1840
	global_load_dwordx2 v[50:51], v109, s[12:13] offset:1840
	v_lshrrev_b32_e32 v7, 23, v13
	v_mul_lo_u16_e32 v7, 0xf0, v7
	v_sub_u16_e32 v7, v74, v7
	v_lshrrev_b32_e32 v111, 23, v14
	v_lshlrev_b32_e32 v110, 3, v7
	v_mul_lo_u16_e32 v7, 0xf0, v111
	v_sub_u16_e32 v7, v72, v7
	global_load_dwordx2 v[52:53], v110, s[12:13] offset:1840
	v_lshlrev_b32_e32 v112, 3, v7
	global_load_dwordx2 v[54:55], v112, s[12:13] offset:1840
	v_lshrrev_b32_e32 v7, 23, v15
	v_mul_lo_u16_e32 v7, 0xf0, v7
	v_sub_u16_e32 v7, v70, v7
	v_lshrrev_b32_e32 v114, 23, v12
	v_lshlrev_b32_e32 v113, 3, v7
	global_load_dwordx2 v[56:57], v113, s[12:13] offset:1840
	v_mul_lo_u16_e32 v7, 0xf0, v114
	v_sub_u16_e32 v7, v82, v7
	v_lshlrev_b32_e32 v115, 3, v7
	global_load_dwordx2 v[58:59], v115, s[12:13] offset:1840
	v_lshrrev_b32_e32 v7, 23, v16
	v_mul_lo_u16_e32 v7, 0xf0, v7
	v_sub_u16_e32 v7, v78, v7
	v_lshrrev_b32_e32 v117, 23, v17
	v_lshlrev_b32_e32 v116, 3, v7
	v_mul_lo_u16_e32 v7, 0xf0, v117
	v_sub_u16_e32 v7, v76, v7
	global_load_dwordx2 v[60:61], v116, s[12:13] offset:1840
	v_lshlrev_b32_e32 v118, 3, v7
	global_load_dwordx2 v[96:97], v118, s[12:13] offset:1840
	v_lshrrev_b32_e32 v7, 23, v18
	v_mul_lo_u16_e32 v7, 0xf0, v7
	v_sub_u16_e32 v7, v84, v7
	v_lshlrev_b32_e32 v119, 3, v7
	global_load_dwordx2 v[98:99], v119, s[12:13] offset:1840
	global_load_dwordx2 v[100:101], v[5:6], off offset:1840
	ds_read2st64_b64 v[7:10], v94 offset0:32 offset1:34
	s_movk_i32 s0, 0xef
	v_cmp_lt_u32_e64 s[0:1], s0, v68
	v_lshlrev_b32_e32 v3, 3, v3
	v_mul_lo_u16_sdwa v13, v13, s5 dst_sel:DWORD dst_unused:UNUSED_PAD src0_sel:BYTE_3 src1_sel:DWORD
	v_sub_u16_e32 v13, v74, v13
	s_waitcnt vmcnt(14) lgkmcnt(0)
	v_mul_f32_e32 v21, v20, v8
	v_mul_f32_e32 v121, v20, v7
	v_fma_f32 v120, v19, v7, -v21
	v_fmac_f32_e32 v121, v19, v8
	ds_read2st64_b64 v[19:22], v94 offset0:36 offset1:38
	s_waitcnt vmcnt(13) lgkmcnt(0)
	v_mul_f32_e32 v125, v19, v24
	s_waitcnt vmcnt(12)
	v_mul_f32_e32 v7, v26, v10
	v_fma_f32 v122, v25, v9, -v7
	v_mul_f32_e32 v123, v26, v9
	v_mul_f32_e32 v7, v20, v24
	v_fmac_f32_e32 v123, v25, v10
	v_fma_f32 v124, v19, v23, -v7
	ds_read2st64_b64 v[7:10], v94 offset0:40 offset1:42
	v_fmac_f32_e32 v125, v20, v23
	s_waitcnt vmcnt(11)
	v_mul_f32_e32 v19, v22, v28
	v_fma_f32 v126, v21, v27, -v19
	v_mul_f32_e32 v127, v21, v28
	s_waitcnt vmcnt(10) lgkmcnt(0)
	v_mul_f32_e32 v19, v8, v30
	v_fmac_f32_e32 v127, v22, v27
	v_fma_f32 v128, v7, v29, -v19
	ds_read2st64_b64 v[19:22], v94 offset0:44 offset1:46
	v_mul_f32_e32 v129, v7, v30
	v_fmac_f32_e32 v129, v8, v29
	s_waitcnt vmcnt(9)
	v_mul_f32_e32 v7, v10, v32
	v_fma_f32 v130, v9, v31, -v7
	v_mul_f32_e32 v131, v9, v32
	s_waitcnt vmcnt(8) lgkmcnt(0)
	v_mul_f32_e32 v7, v20, v51
	v_fmac_f32_e32 v131, v10, v31
	v_fma_f32 v132, v19, v50, -v7
	ds_read2st64_b64 v[7:10], v94 offset0:48 offset1:50
	v_mul_f32_e32 v133, v19, v51
	;; [unrolled: 11-line block ×3, first 2 shown]
	s_waitcnt vmcnt(5)
	v_mul_f32_e32 v7, v10, v57
	v_fma_f32 v138, v9, v56, -v7
	v_mul_f32_e32 v139, v9, v57
	v_fmac_f32_e32 v137, v8, v54
	s_waitcnt vmcnt(4) lgkmcnt(0)
	v_mul_f32_e32 v7, v20, v59
	v_fmac_f32_e32 v139, v10, v56
	v_fma_f32 v140, v19, v58, -v7
	ds_read2st64_b64 v[7:10], v94 offset0:56 offset1:58
	v_mul_f32_e32 v141, v19, v59
	v_fmac_f32_e32 v141, v20, v58
	s_waitcnt vmcnt(3)
	v_mul_f32_e32 v19, v22, v61
	v_fma_f32 v142, v21, v60, -v19
	v_mul_f32_e32 v143, v21, v61
	s_waitcnt vmcnt(2) lgkmcnt(0)
	v_mul_f32_e32 v19, v8, v97
	v_fmac_f32_e32 v143, v22, v60
	v_fma_f32 v144, v7, v96, -v19
	ds_read2st64_b64 v[19:22], v94 offset1:30
	v_mul_f32_e32 v145, v7, v97
	s_waitcnt vmcnt(1)
	v_mul_f32_e32 v7, v10, v99
	v_fmac_f32_e32 v145, v8, v96
	v_fma_f32 v146, v9, v98, -v7
	s_waitcnt vmcnt(0) lgkmcnt(0)
	v_mul_f32_e32 v7, v101, v22
	v_mul_f32_e32 v8, v101, v21
	v_fma_f32 v7, v100, v21, -v7
	v_fmac_f32_e32 v8, v100, v22
	v_mul_f32_e32 v99, v9, v99
	v_sub_f32_e32 v7, v19, v7
	v_sub_f32_e32 v8, v20, v8
	v_fmac_f32_e32 v99, v10, v98
	v_fma_f32 v9, v19, 2.0, -v7
	v_fma_f32 v10, v20, 2.0, -v8
	ds_read_b64 v[19:20], v34
	ds_read_b64 v[21:22], v33
	;; [unrolled: 1-line block ×14, first 2 shown]
	s_waitcnt lgkmcnt(0)
	s_barrier
	ds_write2_b64 v94, v[9:10], v[7:8] offset1:240
	v_sub_f32_e32 v7, v19, v120
	v_fma_f32 v9, v19, 2.0, -v7
	v_mov_b32_e32 v19, 0xf00
	v_sub_f32_e32 v8, v20, v121
	v_cndmask_b32_e64 v19, 0, v19, s[0:1]
	v_fma_f32 v10, v20, 2.0, -v8
	v_add3_u32 v3, 0, v19, v3
	ds_write2_b64 v3, v[9:10], v[7:8] offset1:240
	v_sub_f32_e32 v7, v21, v122
	v_sub_f32_e32 v8, v22, v123
	v_fma_f32 v9, v21, 2.0, -v7
	v_fma_f32 v10, v22, 2.0, -v8
	v_add_u32_e32 v3, 0xf80, v94
	ds_write2_b64 v3, v[9:10], v[7:8] offset1:240
	v_sub_f32_e32 v7, v52, v124
	v_sub_f32_e32 v8, v53, v125
	v_mul_u32_u24_e32 v3, 0xf00, v102
	v_fma_f32 v9, v52, 2.0, -v7
	v_fma_f32 v10, v53, 2.0, -v8
	v_add3_u32 v3, 0, v3, v103
	ds_write2_b64 v3, v[9:10], v[7:8] offset1:240
	v_sub_f32_e32 v7, v50, v126
	v_sub_f32_e32 v8, v51, v127
	v_add_u32_e32 v3, 0, v104
	v_fma_f32 v9, v50, 2.0, -v7
	v_fma_f32 v10, v51, 2.0, -v8
	v_add_u32_e32 v3, 0x1e00, v3
	ds_write2_b64 v3, v[9:10], v[7:8] offset1:240
	v_sub_f32_e32 v7, v23, v128
	v_sub_f32_e32 v8, v24, v129
	v_mul_u32_u24_e32 v3, 0xf00, v105
	v_fma_f32 v9, v23, 2.0, -v7
	v_fma_f32 v10, v24, 2.0, -v8
	v_add3_u32 v3, 0, v3, v106
	ds_write2_b64 v3, v[9:10], v[7:8] offset1:240
	v_sub_f32_e32 v7, v25, v130
	v_sub_f32_e32 v8, v26, v131
	v_add_u32_e32 v3, 0, v107
	v_fma_f32 v9, v25, 2.0, -v7
	v_fma_f32 v10, v26, 2.0, -v8
	v_add_u32_e32 v3, 0x2d00, v3
	ds_write2_b64 v3, v[9:10], v[7:8] offset1:240
	v_sub_f32_e32 v7, v27, v132
	v_sub_f32_e32 v8, v28, v133
	v_mul_u32_u24_e32 v3, 0xf00, v108
	v_fma_f32 v9, v27, 2.0, -v7
	v_fma_f32 v10, v28, 2.0, -v8
	v_add3_u32 v3, 0, v3, v109
	ds_write2_b64 v3, v[9:10], v[7:8] offset1:240
	v_sub_f32_e32 v7, v29, v134
	v_sub_f32_e32 v8, v30, v135
	v_add_u32_e32 v3, 0, v110
	v_fma_f32 v9, v29, 2.0, -v7
	v_fma_f32 v10, v30, 2.0, -v8
	v_add_u32_e32 v3, 0x3c00, v3
	ds_write2_b64 v3, v[9:10], v[7:8] offset1:240
	v_sub_f32_e32 v7, v31, v136
	v_sub_f32_e32 v8, v32, v137
	v_mul_u32_u24_e32 v3, 0xf00, v111
	v_fma_f32 v9, v31, 2.0, -v7
	v_fma_f32 v10, v32, 2.0, -v8
	v_add3_u32 v3, 0, v3, v112
	ds_write2_b64 v3, v[9:10], v[7:8] offset1:240
	v_sub_f32_e32 v7, v54, v138
	v_sub_f32_e32 v8, v55, v139
	v_add_u32_e32 v3, 0, v113
	v_fma_f32 v9, v54, 2.0, -v7
	v_fma_f32 v10, v55, 2.0, -v8
	v_add_u32_e32 v3, 0x4b00, v3
	ds_write2_b64 v3, v[9:10], v[7:8] offset1:240
	v_sub_f32_e32 v7, v56, v140
	v_sub_f32_e32 v8, v57, v141
	v_mul_u32_u24_e32 v3, 0xf00, v114
	v_fma_f32 v9, v56, 2.0, -v7
	v_fma_f32 v10, v57, 2.0, -v8
	v_add3_u32 v3, 0, v3, v115
	ds_write2_b64 v3, v[9:10], v[7:8] offset1:240
	v_sub_f32_e32 v7, v58, v142
	v_sub_f32_e32 v8, v59, v143
	v_add_u32_e32 v3, 0, v116
	v_fma_f32 v9, v58, 2.0, -v7
	v_fma_f32 v10, v59, 2.0, -v8
	v_add_u32_e32 v3, 0x5a00, v3
	ds_write2_b64 v3, v[9:10], v[7:8] offset1:240
	v_sub_f32_e32 v7, v60, v144
	v_sub_f32_e32 v8, v61, v145
	v_mul_u32_u24_e32 v3, 0xf00, v117
	v_fma_f32 v9, v60, 2.0, -v7
	v_fma_f32 v10, v61, 2.0, -v8
	v_add3_u32 v3, 0, v3, v118
	ds_write2_b64 v3, v[9:10], v[7:8] offset1:240
	v_sub_f32_e32 v7, v96, v146
	v_sub_f32_e32 v8, v97, v99
	v_add_u32_e32 v3, 0, v119
	v_fma_f32 v9, v96, 2.0, -v7
	v_fma_f32 v10, v97, 2.0, -v8
	v_add_u32_e32 v3, 0x6900, v3
	ds_write2_b64 v3, v[9:10], v[7:8] offset1:240
	v_lshlrev_b64 v[9:10], 3, v[68:69]
	v_lshlrev_b64 v[7:8], 3, v[66:67]
	v_add_co_u32_e64 v19, s[0:1], s12, v9
	v_addc_co_u32_e64 v20, s[0:1], v49, v10, s[0:1]
	v_add_co_u32_e64 v21, s[0:1], s12, v7
	v_addc_co_u32_e64 v22, s[0:1], v49, v8, s[0:1]
	s_waitcnt lgkmcnt(0)
	s_barrier
	global_load_dwordx2 v[25:26], v[19:20], off offset:3760
	global_load_dwordx2 v[29:30], v[21:22], off offset:3760
	v_add_u32_e32 v3, 0xffffffa0, v0
	v_cmp_gt_u32_e64 s[0:1], s5, v92
	v_cndmask_b32_e64 v3, v3, v92, s[0:1]
	v_lshlrev_b64 v[23:24], 3, v[3:4]
	v_mul_lo_u16_sdwa v27, v11, s5 dst_sel:DWORD dst_unused:UNUSED_PAD src0_sel:BYTE_3 src1_sel:DWORD
	v_add_co_u32_e64 v23, s[0:1], s12, v23
	v_addc_co_u32_e64 v24, s[0:1], v49, v24, s[0:1]
	global_load_dwordx2 v[31:32], v[23:24], off offset:3760
	global_load_dwordx2 v[50:51], v[5:6], off offset:4016
	v_add_co_u32_e64 v23, s[0:1], s4, v5
	v_addc_co_u32_e64 v24, s[0:1], 0, v6, s[0:1]
	global_load_dwordx2 v[52:53], v[23:24], off offset:944
	global_load_dwordx2 v[54:55], v[23:24], off offset:1968
	v_sub_u16_e32 v27, v80, v27
	v_lshlrev_b32_e32 v67, 3, v27
	global_load_dwordx2 v[56:57], v67, s[12:13] offset:3760
	v_lshlrev_b32_e32 v69, 3, v13
	global_load_dwordx2 v[58:59], v69, s[12:13] offset:3760
	v_mul_lo_u16_sdwa v13, v14, s5 dst_sel:DWORD dst_unused:UNUSED_PAD src0_sel:BYTE_3 src1_sel:DWORD
	v_sub_u16_e32 v13, v72, v13
	v_lshlrev_b32_e32 v108, 3, v13
	global_load_dwordx2 v[60:61], v108, s[12:13] offset:3760
	v_mul_lo_u16_sdwa v13, v15, s5 dst_sel:DWORD dst_unused:UNUSED_PAD src0_sel:BYTE_3 src1_sel:DWORD
	v_sub_u16_e32 v13, v70, v13
	;; [unrolled: 4-line block ×6, first 2 shown]
	v_lshlrev_b32_e32 v113, 3, v13
	global_load_dwordx2 v[17:18], v113, s[12:13] offset:3760
	global_load_dwordx2 v[104:105], v[5:6], off offset:3760
	ds_read2st64_b64 v[13:16], v94 offset0:32 offset1:34
	s_movk_i32 s0, 0x1df
	v_cmp_lt_u32_e64 s[0:1], s0, v92
	v_lshlrev_b32_e32 v3, 3, v3
	s_waitcnt vmcnt(14) lgkmcnt(0)
	v_mul_f32_e32 v27, v26, v14
	v_mul_f32_e32 v107, v26, v13
	v_fma_f32 v106, v25, v13, -v27
	v_fmac_f32_e32 v107, v25, v14
	ds_read2st64_b64 v[25:28], v94 offset0:36 offset1:38
	s_waitcnt vmcnt(13)
	v_mul_f32_e32 v13, v30, v16
	v_fma_f32 v114, v29, v15, -v13
	v_mul_f32_e32 v30, v30, v15
	v_fmac_f32_e32 v30, v29, v16
	s_waitcnt vmcnt(12) lgkmcnt(0)
	v_mul_f32_e32 v13, v26, v32
	v_fma_f32 v115, v25, v31, -v13
	ds_read2st64_b64 v[13:16], v94 offset0:40 offset1:42
	v_mul_f32_e32 v116, v25, v32
	s_waitcnt vmcnt(11)
	v_mul_f32_e32 v25, v28, v51
	v_fma_f32 v117, v27, v50, -v25
	v_mul_f32_e32 v118, v27, v51
	s_waitcnt vmcnt(10) lgkmcnt(0)
	v_mul_f32_e32 v25, v14, v53
	v_fmac_f32_e32 v116, v26, v31
	v_fmac_f32_e32 v118, v28, v50
	v_fma_f32 v119, v13, v52, -v25
	ds_read2st64_b64 v[25:28], v94 offset0:44 offset1:46
	v_mul_f32_e32 v120, v13, v53
	s_waitcnt vmcnt(9)
	v_mul_f32_e32 v13, v16, v55
	v_fma_f32 v121, v15, v54, -v13
	v_mul_f32_e32 v122, v15, v55
	s_waitcnt vmcnt(8) lgkmcnt(0)
	v_mul_f32_e32 v13, v26, v57
	v_fmac_f32_e32 v120, v14, v52
	v_fmac_f32_e32 v122, v16, v54
	;; [unrolled: 11-line block ×5, first 2 shown]
	v_fma_f32 v135, v13, v102, -v25
	ds_read2st64_b64 v[25:28], v94 offset1:30
	v_mul_f32_e32 v136, v13, v103
	s_waitcnt vmcnt(1)
	v_mul_f32_e32 v13, v16, v18
	v_fmac_f32_e32 v136, v14, v102
	v_fma_f32 v137, v15, v17, -v13
	s_waitcnt vmcnt(0) lgkmcnt(0)
	v_mul_f32_e32 v13, v105, v28
	v_mul_f32_e32 v14, v105, v27
	v_fma_f32 v13, v104, v27, -v13
	v_fmac_f32_e32 v14, v104, v28
	v_mul_f32_e32 v138, v15, v18
	v_sub_f32_e32 v13, v25, v13
	v_sub_f32_e32 v14, v26, v14
	v_fmac_f32_e32 v138, v16, v17
	ds_read_b64 v[15:16], v34
	ds_read_b64 v[31:32], v40
	v_fma_f32 v17, v25, 2.0, -v13
	v_fma_f32 v18, v26, 2.0, -v14
	ds_read_b64 v[25:26], v33
	ds_read_b64 v[50:51], v39
	ds_read_b64 v[52:53], v35
	s_waitcnt lgkmcnt(4)
	v_sub_f32_e32 v27, v15, v106
	v_sub_f32_e32 v28, v16, v107
	v_fma_f32 v15, v15, 2.0, -v27
	s_waitcnt lgkmcnt(2)
	v_sub_f32_e32 v29, v25, v114
	v_sub_f32_e32 v30, v26, v30
	v_fma_f32 v16, v16, 2.0, -v28
	v_fma_f32 v25, v25, 2.0, -v29
	;; [unrolled: 1-line block ×3, first 2 shown]
	ds_read_b64 v[56:57], v37
	ds_read_b64 v[58:59], v48
	;; [unrolled: 1-line block ×9, first 2 shown]
	s_waitcnt lgkmcnt(0)
	s_barrier
	ds_write_b64 v94, v[17:18]
	ds_write_b64 v94, v[13:14] offset:3840
	ds_write_b64 v34, v[15:16]
	ds_write_b64 v34, v[27:28] offset:3840
	;; [unrolled: 2-line block ×3, first 2 shown]
	v_mov_b32_e32 v13, 0x1e00
	v_sub_f32_e32 v54, v31, v115
	v_sub_f32_e32 v55, v32, v116
	v_cndmask_b32_e64 v13, 0, v13, s[0:1]
	v_fma_f32 v31, v31, 2.0, -v54
	v_fma_f32 v32, v32, 2.0, -v55
	v_add3_u32 v3, 0, v13, v3
	v_sub_f32_e32 v13, v50, v117
	v_sub_f32_e32 v14, v51, v118
	;; [unrolled: 1-line block ×4, first 2 shown]
	ds_write_b64 v3, v[31:32]
	ds_write_b64 v3, v[54:55] offset:3840
	v_fma_f32 v15, v50, 2.0, -v13
	v_fma_f32 v16, v51, 2.0, -v14
	v_fma_f32 v25, v56, 2.0, -v17
	v_fma_f32 v26, v57, 2.0, -v18
	v_add_u32_e32 v3, 0x100, v94
	ds_write2st64_b64 v3, v[15:16], v[25:26] offset0:15 offset1:17
	v_sub_f32_e32 v15, v58, v121
	v_sub_f32_e32 v16, v59, v122
	v_fma_f32 v25, v58, 2.0, -v15
	v_fma_f32 v26, v59, 2.0, -v16
	v_add_u32_e32 v3, 0x2700, v94
	s_movk_i32 s0, 0x1e00
	ds_write2_b64 v3, v[25:26], v[13:14] offset1:224
	ds_write2st64_b64 v94, v[17:18], v[15:16] offset0:25 offset1:27
	v_sub_f32_e32 v13, v60, v123
	v_sub_f32_e32 v14, v61, v124
	v_mul_u32_u24_sdwa v3, v11, s0 dst_sel:DWORD dst_unused:UNUSED_PAD src0_sel:BYTE_3 src1_sel:DWORD
	v_fma_f32 v15, v60, 2.0, -v13
	v_fma_f32 v16, v61, 2.0, -v14
	v_add3_u32 v3, 0, v3, v67
	ds_write_b64 v3, v[15:16]
	ds_write_b64 v3, v[13:14] offset:3840
	v_sub_f32_e32 v13, v96, v125
	v_sub_f32_e32 v14, v97, v126
	v_fma_f32 v15, v96, 2.0, -v13
	v_fma_f32 v16, v97, 2.0, -v14
	v_add_u32_e32 v3, 0, v69
	ds_write_b64 v3, v[15:16] offset:15360
	ds_write_b64 v3, v[13:14] offset:19200
	v_sub_f32_e32 v13, v98, v127
	v_sub_f32_e32 v14, v99, v128
	v_fma_f32 v15, v98, 2.0, -v13
	v_fma_f32 v16, v99, 2.0, -v14
	v_add_u32_e32 v3, 0, v108
	ds_write_b64 v3, v[15:16] offset:15360
	;; [unrolled: 7-line block ×3, first 2 shown]
	ds_write_b64 v3, v[13:14] offset:19200
	v_sub_f32_e32 v13, v100, v131
	v_sub_f32_e32 v14, v101, v132
	v_mul_u32_u24_sdwa v3, v12, s0 dst_sel:DWORD dst_unused:UNUSED_PAD src0_sel:BYTE_3 src1_sel:DWORD
	v_fma_f32 v15, v100, 2.0, -v13
	v_fma_f32 v16, v101, 2.0, -v14
	v_add3_u32 v3, 0, v3, v110
	v_sub_f32_e32 v11, v102, v133
	v_sub_f32_e32 v12, v103, v134
	ds_write_b64 v3, v[15:16]
	ds_write_b64 v3, v[13:14] offset:3840
	v_fma_f32 v13, v102, 2.0, -v11
	v_fma_f32 v14, v103, 2.0, -v12
	v_add_u32_e32 v3, 0, v111
	ds_write_b64 v3, v[13:14] offset:23040
	ds_write_b64 v3, v[11:12] offset:26880
	v_sub_f32_e32 v11, v104, v135
	v_sub_f32_e32 v12, v105, v136
	v_fma_f32 v13, v104, 2.0, -v11
	v_fma_f32 v14, v105, 2.0, -v12
	v_add_u32_e32 v3, 0, v112
	ds_write_b64 v3, v[13:14] offset:23040
	ds_write_b64 v3, v[11:12] offset:26880
	v_sub_f32_e32 v11, v106, v137
	v_sub_f32_e32 v12, v107, v138
	v_fma_f32 v13, v106, 2.0, -v11
	v_fma_f32 v14, v107, 2.0, -v12
	v_add_u32_e32 v3, 0, v113
	ds_write_b64 v3, v[13:14] offset:23040
	ds_write_b64 v3, v[11:12] offset:26880
	v_add_co_u32_e64 v11, s[0:1], s4, v19
	v_addc_co_u32_e64 v12, s[0:1], 0, v20, s[0:1]
	v_add_co_u32_e64 v13, s[0:1], s4, v21
	v_lshlrev_b64 v[17:18], 3, v[92:93]
	v_addc_co_u32_e64 v14, s[0:1], 0, v22, s[0:1]
	v_add_co_u32_e64 v31, s[0:1], s12, v17
	v_addc_co_u32_e64 v32, s[0:1], v49, v18, s[0:1]
	v_add_co_u32_e64 v50, s[0:1], s4, v31
	v_lshlrev_b64 v[15:16], 3, v[88:89]
	v_addc_co_u32_e64 v51, s[0:1], 0, v32, s[0:1]
	v_add_co_u32_e64 v29, s[0:1], s12, v15
	v_addc_co_u32_e64 v30, s[0:1], v49, v16, s[0:1]
	s_waitcnt lgkmcnt(0)
	s_barrier
	global_load_dwordx2 v[58:59], v[13:14], off offset:3504
	global_load_dwordx2 v[54:55], v[11:12], off offset:3504
	;; [unrolled: 1-line block ×3, first 2 shown]
	v_add_co_u32_e64 v52, s[0:1], s4, v29
	v_lshlrev_b64 v[13:14], 3, v[86:87]
	v_addc_co_u32_e64 v53, s[0:1], 0, v30, s[0:1]
	v_add_co_u32_e64 v27, s[0:1], s12, v13
	v_addc_co_u32_e64 v28, s[0:1], v49, v14, s[0:1]
	v_add_co_u32_e64 v56, s[0:1], s4, v27
	v_lshlrev_b64 v[11:12], 3, v[90:91]
	v_addc_co_u32_e64 v57, s[0:1], 0, v28, s[0:1]
	v_add_co_u32_e64 v25, s[0:1], s12, v11
	v_addc_co_u32_e64 v26, s[0:1], v49, v12, s[0:1]
	v_add_co_u32_e64 v86, s[0:1], s4, v25
	v_addc_co_u32_e64 v87, s[0:1], 0, v26, s[0:1]
	s_movk_i32 s0, 0x3c0
	v_add_u32_e32 v3, 0xfffffc40, v80
	v_cmp_gt_u32_e64 s[0:1], s0, v80
	v_cndmask_b32_e64 v3, v3, v80, s[0:1]
	global_load_dwordx2 v[88:89], v[50:51], off offset:3504
	global_load_dwordx2 v[90:91], v[52:53], off offset:3504
	;; [unrolled: 1-line block ×4, first 2 shown]
	v_lshlrev_b64 v[50:51], 3, v[3:4]
	v_add_u32_e32 v56, 0x340, v0
	v_add_co_u32_e64 v50, s[0:1], s12, v50
	v_addc_co_u32_e64 v51, s[0:1], v49, v51, s[0:1]
	v_add_co_u32_e64 v50, s[0:1], s4, v50
	v_addc_co_u32_e64 v51, s[0:1], 0, v51, s[0:1]
	s_movk_i32 s0, 0x2000
	v_add_co_u32_e64 v52, s[0:1], s0, v5
	v_addc_co_u32_e64 v53, s[0:1], 0, v6, s[0:1]
	global_load_dwordx2 v[86:87], v[50:51], off offset:3504
	global_load_dwordx2 v[98:99], v[52:53], off offset:944
	;; [unrolled: 1-line block ×4, first 2 shown]
	v_add_u32_e32 v50, 0x240, v0
	v_mov_b32_e32 v51, v4
	v_lshlrev_b64 v[50:51], 3, v[50:51]
	v_add_u32_e32 v52, 0x2c0, v0
	v_add_co_u32_e64 v50, s[0:1], s12, v50
	v_addc_co_u32_e64 v51, s[0:1], v49, v51, s[0:1]
	v_mov_b32_e32 v53, v4
	v_add_co_u32_e64 v50, s[0:1], s4, v50
	v_lshlrev_b64 v[52:53], 3, v[52:53]
	v_addc_co_u32_e64 v51, s[0:1], 0, v51, s[0:1]
	v_add_co_u32_e64 v52, s[0:1], s12, v52
	v_addc_co_u32_e64 v53, s[0:1], v49, v53, s[0:1]
	v_mov_b32_e32 v57, v4
	v_add_co_u32_e64 v52, s[0:1], s4, v52
	v_lshlrev_b64 v[56:57], 3, v[56:57]
	global_load_dwordx2 v[104:105], v[50:51], off offset:3504
	v_addc_co_u32_e64 v53, s[0:1], 0, v53, s[0:1]
	global_load_dwordx2 v[106:107], v[52:53], off offset:3504
	v_add_co_u32_e64 v4, s[0:1], s12, v56
	v_addc_co_u32_e64 v51, s[0:1], v49, v57, s[0:1]
	v_add_co_u32_e64 v50, s[0:1], s4, v4
	v_addc_co_u32_e64 v51, s[0:1], 0, v51, s[0:1]
	global_load_dwordx2 v[108:109], v[50:51], off offset:3504
	global_load_dwordx2 v[110:111], v[23:24], off offset:3504
	ds_read2st64_b64 v[50:53], v94 offset0:32 offset1:34
	s_movk_i32 s0, 0x3bf
	v_cmp_lt_u32_e64 s[0:1], s0, v80
	v_lshlrev_b32_e32 v3, 3, v3
	s_movk_i32 s4, 0x3000
	s_waitcnt vmcnt(13) lgkmcnt(0)
	v_mul_f32_e32 v4, v55, v51
	v_mul_f32_e32 v67, v55, v50
	v_fma_f32 v4, v54, v50, -v4
	v_fmac_f32_e32 v67, v54, v51
	ds_read2st64_b64 v[54:57], v94 offset0:36 offset1:38
	v_mul_f32_e32 v23, v59, v53
	v_mul_f32_e32 v112, v59, v52
	v_fma_f32 v69, v58, v52, -v23
	v_fmac_f32_e32 v112, v58, v53
	ds_read2st64_b64 v[50:53], v94 offset0:40 offset1:42
	s_waitcnt vmcnt(11) lgkmcnt(1)
	v_mul_f32_e32 v23, v55, v89
	v_fma_f32 v113, v54, v88, -v23
	v_mul_f32_e32 v114, v54, v89
	s_waitcnt vmcnt(10)
	v_mul_f32_e32 v23, v57, v91
	v_mul_f32_e32 v116, v56, v91
	v_fmac_f32_e32 v114, v55, v88
	v_fma_f32 v115, v56, v90, -v23
	v_fmac_f32_e32 v116, v57, v90
	ds_read2st64_b64 v[54:57], v94 offset0:44 offset1:46
	s_waitcnt vmcnt(9) lgkmcnt(1)
	v_mul_f32_e32 v23, v51, v93
	v_fma_f32 v117, v50, v92, -v23
	v_mul_f32_e32 v118, v50, v93
	s_waitcnt vmcnt(8)
	v_mul_f32_e32 v23, v53, v97
	v_mul_f32_e32 v120, v52, v97
	v_fmac_f32_e32 v118, v51, v92
	v_fma_f32 v119, v52, v96, -v23
	v_fmac_f32_e32 v120, v53, v96
	s_waitcnt vmcnt(7) lgkmcnt(0)
	v_mul_f32_e32 v23, v55, v87
	ds_read2st64_b64 v[50:53], v94 offset0:48 offset1:50
	v_fma_f32 v121, v54, v86, -v23
	v_mul_f32_e32 v122, v54, v87
	v_mul_f32_e32 v23, v57, v61
	;; [unrolled: 1-line block ×3, first 2 shown]
	v_fmac_f32_e32 v122, v55, v86
	v_fma_f32 v123, v56, v60, -v23
	v_fmac_f32_e32 v124, v57, v60
	ds_read2st64_b64 v[54:57], v94 offset0:52 offset1:54
	s_waitcnt vmcnt(6) lgkmcnt(1)
	v_mul_f32_e32 v23, v51, v99
	v_fma_f32 v125, v50, v98, -v23
	v_mul_f32_e32 v126, v50, v99
	s_waitcnt vmcnt(5)
	v_mul_f32_e32 v23, v53, v101
	v_mul_f32_e32 v128, v52, v101
	v_fmac_f32_e32 v126, v51, v98
	v_fma_f32 v127, v52, v100, -v23
	v_fmac_f32_e32 v128, v53, v100
	s_waitcnt vmcnt(4) lgkmcnt(0)
	v_mul_f32_e32 v23, v55, v103
	ds_read2st64_b64 v[50:53], v94 offset0:56 offset1:58
	v_fma_f32 v129, v54, v102, -v23
	v_mul_f32_e32 v130, v54, v103
	v_fmac_f32_e32 v130, v55, v102
	s_waitcnt vmcnt(3)
	v_mul_f32_e32 v23, v57, v105
	v_mul_f32_e32 v132, v56, v105
	v_fma_f32 v131, v56, v104, -v23
	v_fmac_f32_e32 v132, v57, v104
	ds_read2st64_b64 v[54:57], v94 offset1:30
	s_waitcnt vmcnt(2) lgkmcnt(1)
	v_mul_f32_e32 v23, v51, v107
	v_fma_f32 v133, v50, v106, -v23
	v_mul_f32_e32 v107, v50, v107
	v_fmac_f32_e32 v107, v51, v106
	s_waitcnt vmcnt(1)
	v_mul_f32_e32 v23, v53, v109
	v_fma_f32 v106, v52, v108, -v23
	s_waitcnt vmcnt(0) lgkmcnt(0)
	v_mul_f32_e32 v23, v111, v57
	v_mul_f32_e32 v24, v111, v56
	v_fma_f32 v23, v110, v56, -v23
	v_fmac_f32_e32 v24, v110, v57
	v_sub_f32_e32 v23, v54, v23
	v_sub_f32_e32 v24, v55, v24
	v_mul_f32_e32 v109, v52, v109
	v_fma_f32 v50, v54, 2.0, -v23
	v_fma_f32 v51, v55, 2.0, -v24
	v_fmac_f32_e32 v109, v53, v108
	ds_read_b64 v[52:53], v34
	ds_read_b64 v[54:55], v33
	;; [unrolled: 1-line block ×14, first 2 shown]
	s_waitcnt lgkmcnt(0)
	s_barrier
	ds_write2st64_b64 v94, v[50:51], v[23:24] offset1:15
	v_sub_f32_e32 v23, v52, v4
	v_sub_f32_e32 v24, v53, v67
	v_fma_f32 v50, v52, 2.0, -v23
	v_fma_f32 v51, v53, 2.0, -v24
	ds_write2st64_b64 v34, v[50:51], v[23:24] offset1:15
	v_sub_f32_e32 v23, v54, v69
	v_sub_f32_e32 v24, v55, v112
	v_fma_f32 v50, v54, 2.0, -v23
	v_fma_f32 v51, v55, 2.0, -v24
	;; [unrolled: 5-line block ×6, first 2 shown]
	v_mov_b32_e32 v4, 0x3c00
	ds_write2st64_b64 v48, v[50:51], v[23:24] offset1:15
	v_sub_f32_e32 v23, v60, v121
	v_sub_f32_e32 v24, v61, v122
	v_cndmask_b32_e64 v4, 0, v4, s[0:1]
	v_fma_f32 v50, v60, 2.0, -v23
	v_fma_f32 v51, v61, 2.0, -v24
	v_add3_u32 v3, 0, v4, v3
	ds_write2st64_b64 v3, v[50:51], v[23:24] offset1:15
	v_sub_f32_e32 v3, v86, v123
	v_sub_f32_e32 v4, v87, v124
	;; [unrolled: 1-line block ×4, first 2 shown]
	v_fma_f32 v23, v86, 2.0, -v3
	v_fma_f32 v24, v87, 2.0, -v4
	;; [unrolled: 1-line block ×4, first 2 shown]
	ds_write2st64_b64 v94, v[23:24], v[52:53] offset0:31 offset1:33
	v_sub_f32_e32 v23, v96, v127
	v_sub_f32_e32 v24, v97, v128
	v_fma_f32 v52, v96, 2.0, -v23
	v_fma_f32 v53, v97, 2.0, -v24
	ds_write2st64_b64 v94, v[50:51], v[23:24] offset0:48 offset1:50
	v_sub_f32_e32 v23, v98, v129
	v_sub_f32_e32 v24, v99, v130
	v_fma_f32 v50, v98, 2.0, -v23
	v_fma_f32 v51, v99, 2.0, -v24
	ds_write2st64_b64 v94, v[52:53], v[50:51] offset0:35 offset1:37
	v_sub_f32_e32 v50, v100, v131
	v_sub_f32_e32 v51, v101, v132
	ds_write2st64_b64 v94, v[23:24], v[50:51] offset0:52 offset1:54
	v_sub_f32_e32 v23, v102, v133
	v_sub_f32_e32 v24, v103, v107
	v_fma_f32 v52, v100, 2.0, -v50
	v_fma_f32 v53, v101, 2.0, -v51
	;; [unrolled: 1-line block ×4, first 2 shown]
	ds_write2st64_b64 v94, v[52:53], v[50:51] offset0:39 offset1:41
	v_sub_f32_e32 v50, v104, v106
	v_sub_f32_e32 v51, v105, v109
	v_fma_f32 v52, v104, 2.0, -v50
	v_fma_f32 v53, v105, 2.0, -v51
	ds_write2st64_b64 v94, v[52:53], v[3:4] offset0:43 offset1:46
	ds_write2st64_b64 v94, v[23:24], v[50:51] offset0:56 offset1:58
	v_add_co_u32_e64 v3, s[0:1], s4, v19
	v_addc_co_u32_e64 v4, s[0:1], 0, v20, s[0:1]
	v_add_co_u32_e64 v19, s[0:1], s4, v21
	v_addc_co_u32_e64 v20, s[0:1], 0, v22, s[0:1]
	;; [unrolled: 2-line block ×3, first 2 shown]
	s_waitcnt lgkmcnt(0)
	s_barrier
	global_load_dwordx2 v[53:54], v[3:4], off offset:2992
	global_load_dwordx2 v[57:58], v[19:20], off offset:2992
	;; [unrolled: 1-line block ×3, first 2 shown]
	v_add_co_u32_e64 v3, s[0:1], s4, v29
	v_addc_co_u32_e64 v4, s[0:1], 0, v30, s[0:1]
	v_add_co_u32_e64 v19, s[0:1], s4, v27
	v_addc_co_u32_e64 v20, s[0:1], 0, v28, s[0:1]
	v_add_co_u32_e64 v21, s[0:1], s4, v25
	v_lshlrev_b64 v[31:32], 3, v[80:81]
	v_addc_co_u32_e64 v22, s[0:1], 0, v26, s[0:1]
	v_add_co_u32_e64 v23, s[0:1], s12, v31
	v_addc_co_u32_e64 v24, s[0:1], v49, v32, s[0:1]
	v_add_co_u32_e64 v23, s[0:1], s4, v23
	v_lshlrev_b64 v[29:30], 3, v[74:75]
	v_addc_co_u32_e64 v24, s[0:1], 0, v24, s[0:1]
	global_load_dwordx2 v[80:81], v[3:4], off offset:2992
	global_load_dwordx2 v[86:87], v[19:20], off offset:2992
	;; [unrolled: 1-line block ×4, first 2 shown]
	v_add_co_u32_e64 v3, s[0:1], s12, v29
	v_addc_co_u32_e64 v4, s[0:1], v49, v30, s[0:1]
	v_add_co_u32_e64 v3, s[0:1], s4, v3
	v_lshlrev_b64 v[27:28], 3, v[72:73]
	v_addc_co_u32_e64 v4, s[0:1], 0, v4, s[0:1]
	v_add_co_u32_e64 v19, s[0:1], s12, v27
	v_addc_co_u32_e64 v20, s[0:1], v49, v28, s[0:1]
	v_add_co_u32_e64 v19, s[0:1], s4, v19
	v_lshlrev_b64 v[25:26], 3, v[70:71]
	v_addc_co_u32_e64 v20, s[0:1], 0, v20, s[0:1]
	;; [unrolled: 5-line block ×3, first 2 shown]
	v_add_co_u32_e64 v50, s[0:1], s12, v23
	v_addc_co_u32_e64 v51, s[0:1], v49, v24, s[0:1]
	v_add_co_u32_e64 v50, s[0:1], s4, v50
	v_addc_co_u32_e64 v51, s[0:1], 0, v51, s[0:1]
	global_load_dwordx2 v[69:70], v[3:4], off offset:2992
	global_load_dwordx2 v[71:72], v[19:20], off offset:2992
	;; [unrolled: 1-line block ×4, first 2 shown]
	v_lshlrev_b64 v[21:22], 3, v[78:79]
	v_lshlrev_b64 v[19:20], 3, v[76:77]
	v_add_co_u32_e64 v3, s[0:1], s12, v21
	v_addc_co_u32_e64 v4, s[0:1], v49, v22, s[0:1]
	v_add_co_u32_e64 v50, s[0:1], s4, v3
	v_addc_co_u32_e64 v51, s[0:1], 0, v4, s[0:1]
	;; [unrolled: 2-line block ×4, first 2 shown]
	v_lshlrev_b64 v[3:4], 3, v[84:85]
	global_load_dwordx2 v[75:76], v[50:51], off offset:2992
	v_add_co_u32_e64 v50, s[0:1], s12, v3
	global_load_dwordx2 v[77:78], v[55:56], off offset:2992
	v_addc_co_u32_e64 v51, s[0:1], v49, v4, s[0:1]
	v_add_co_u32_e64 v49, s[0:1], s4, v50
	v_addc_co_u32_e64 v50, s[0:1], 0, v51, s[0:1]
	global_load_dwordx2 v[84:85], v[49:50], off offset:2992
	v_add_co_u32_e64 v5, s[0:1], s4, v5
	v_addc_co_u32_e64 v6, s[0:1], 0, v6, s[0:1]
	global_load_dwordx2 v[5:6], v[5:6], off offset:2992
	ds_read2st64_b64 v[49:52], v94 offset0:32 offset1:34
	v_cmp_ne_u32_e64 s[0:1], 0, v0
	s_waitcnt vmcnt(14) lgkmcnt(0)
	v_mul_f32_e32 v55, v54, v50
	v_mul_f32_e32 v67, v54, v49
	v_fma_f32 v61, v53, v49, -v55
	v_fmac_f32_e32 v67, v53, v50
	ds_read2st64_b64 v[53:56], v94 offset0:36 offset1:38
	s_waitcnt vmcnt(13)
	v_mul_f32_e32 v49, v58, v52
	v_fma_f32 v92, v57, v51, -v49
	v_mul_f32_e32 v93, v58, v51
	v_fmac_f32_e32 v93, v57, v52
	s_waitcnt vmcnt(12) lgkmcnt(0)
	v_mul_f32_e32 v49, v54, v60
	v_fma_f32 v96, v53, v59, -v49
	ds_read2st64_b64 v[49:52], v94 offset0:40 offset1:42
	v_mul_f32_e32 v97, v53, v60
	s_waitcnt vmcnt(11)
	v_mul_f32_e32 v53, v56, v81
	v_fma_f32 v98, v55, v80, -v53
	v_mul_f32_e32 v99, v55, v81
	s_waitcnt vmcnt(10) lgkmcnt(0)
	v_mul_f32_e32 v53, v50, v87
	v_fmac_f32_e32 v97, v54, v59
	v_fmac_f32_e32 v99, v56, v80
	v_fma_f32 v100, v49, v86, -v53
	ds_read2st64_b64 v[53:56], v94 offset0:44 offset1:46
	v_mul_f32_e32 v87, v49, v87
	s_waitcnt vmcnt(9)
	v_mul_f32_e32 v49, v52, v89
	v_fma_f32 v101, v51, v88, -v49
	v_mul_f32_e32 v89, v51, v89
	s_waitcnt vmcnt(8) lgkmcnt(0)
	v_mul_f32_e32 v49, v54, v91
	v_fmac_f32_e32 v87, v50, v86
	v_fmac_f32_e32 v89, v52, v88
	v_fma_f32 v88, v53, v90, -v49
	ds_read2st64_b64 v[49:52], v94 offset0:48 offset1:50
	v_mul_f32_e32 v91, v53, v91
	v_fmac_f32_e32 v91, v54, v90
	s_waitcnt vmcnt(7)
	v_mul_f32_e32 v53, v56, v70
	v_fma_f32 v90, v55, v69, -v53
	v_mul_f32_e32 v102, v55, v70
	s_waitcnt vmcnt(6) lgkmcnt(0)
	v_mul_f32_e32 v53, v50, v72
	v_fmac_f32_e32 v102, v56, v69
	v_fma_f32 v103, v49, v71, -v53
	ds_read2st64_b64 v[53:56], v94 offset0:52 offset1:54
	v_mul_f32_e32 v104, v49, v72
	s_waitcnt vmcnt(5)
	v_mul_f32_e32 v49, v52, v74
	v_fma_f32 v105, v51, v73, -v49
	v_mul_f32_e32 v106, v51, v74
	s_waitcnt vmcnt(4) lgkmcnt(0)
	v_mul_f32_e32 v49, v54, v83
	v_fmac_f32_e32 v104, v50, v71
	v_fmac_f32_e32 v106, v52, v73
	v_fma_f32 v107, v53, v82, -v49
	ds_read2st64_b64 v[49:52], v94 offset0:56 offset1:58
	v_mul_f32_e32 v108, v53, v83
	v_fmac_f32_e32 v108, v54, v82
	s_waitcnt vmcnt(3)
	v_mul_f32_e32 v53, v56, v76
	v_fma_f32 v109, v55, v75, -v53
	v_mul_f32_e32 v110, v55, v76
	s_waitcnt vmcnt(2) lgkmcnt(0)
	v_mul_f32_e32 v53, v50, v78
	v_fmac_f32_e32 v110, v56, v75
	v_fma_f32 v111, v49, v77, -v53
	ds_read2st64_b64 v[53:56], v94 offset1:30
	v_mul_f32_e32 v112, v49, v78
	v_fmac_f32_e32 v112, v50, v77
	s_waitcnt vmcnt(1)
	v_mul_f32_e32 v49, v52, v85
	v_fma_f32 v113, v51, v84, -v49
	v_mul_f32_e32 v114, v51, v85
	v_fmac_f32_e32 v114, v52, v84
	s_waitcnt vmcnt(0) lgkmcnt(0)
	v_mul_f32_e32 v49, v6, v56
	v_mul_f32_e32 v6, v6, v55
	v_fma_f32 v49, v5, v55, -v49
	v_fmac_f32_e32 v6, v5, v56
	v_sub_f32_e32 v5, v53, v49
	v_sub_f32_e32 v6, v54, v6
	v_fma_f32 v49, v53, 2.0, -v5
	v_fma_f32 v50, v54, 2.0, -v6
	ds_read_b64 v[51:52], v34
	ds_read_b64 v[53:54], v33
	;; [unrolled: 1-line block ×14, first 2 shown]
	s_waitcnt lgkmcnt(0)
	s_barrier
	ds_write2st64_b64 v94, v[49:50], v[5:6] offset1:30
	v_sub_f32_e32 v5, v51, v61
	v_sub_f32_e32 v6, v52, v67
	v_fma_f32 v49, v51, 2.0, -v5
	v_fma_f32 v50, v52, 2.0, -v6
	ds_write2st64_b64 v34, v[49:50], v[5:6] offset1:30
	v_sub_f32_e32 v5, v53, v92
	v_sub_f32_e32 v6, v54, v93
	v_fma_f32 v49, v53, 2.0, -v5
	v_fma_f32 v50, v54, 2.0, -v6
	;; [unrolled: 5-line block ×13, first 2 shown]
	v_sub_f32_e32 v49, v85, v113
	v_sub_f32_e32 v50, v86, v114
	v_fma_f32 v51, v85, 2.0, -v49
	v_fma_f32 v52, v86, 2.0, -v50
	ds_write2st64_b64 v42, v[33:34], v[5:6] offset1:30
	ds_write2st64_b64 v41, v[51:52], v[49:50] offset1:30
	s_waitcnt lgkmcnt(0)
	s_barrier
	ds_read_b64 v[33:34], v94
	v_sub_u32_e32 v49, 0, v95
                                        ; implicit-def: $vgpr6
                                        ; implicit-def: $vgpr50
	s_and_saveexec_b64 s[4:5], s[0:1]
	s_xor_b64 s[4:5], exec, s[4:5]
	s_cbranch_execz .LBB0_15
; %bb.14:
	v_mov_b32_e32 v5, s7
	v_add_co_u32_e64 v1, s[0:1], s6, v1
	v_addc_co_u32_e64 v2, s[0:1], v5, v2, s[0:1]
	global_load_dwordx2 v[1:2], v[1:2], off
	ds_read_b64 v[5:6], v49 offset:30720
	s_waitcnt lgkmcnt(0)
	v_add_f32_e32 v51, v5, v33
	v_sub_f32_e32 v5, v33, v5
	v_add_f32_e32 v50, v6, v34
	v_sub_f32_e32 v6, v34, v6
	v_mul_f32_e32 v34, 0.5, v5
	v_mul_f32_e32 v5, 0.5, v6
	;; [unrolled: 1-line block ×3, first 2 shown]
	s_waitcnt vmcnt(0)
	v_mul_f32_e32 v6, v2, v34
	v_fma_f32 v52, 0.5, v51, v6
	v_fma_f32 v50, v33, v2, v5
	v_fma_f32 v2, v33, v2, -v5
	v_fma_f32 v5, v51, 0.5, -v6
	v_fmac_f32_e32 v52, v1, v33
	v_fma_f32 v50, -v1, v34, v50
	v_fma_f32 v5, -v1, v33, v5
	ds_write_b32 v94, v52
	v_fma_f32 v6, -v1, v34, v2
                                        ; implicit-def: $vgpr33_vgpr34
.LBB0_15:
	s_or_saveexec_b64 s[0:1], s[4:5]
	v_mul_i32_i24_e32 v1, 0xffffffb8, v68
	v_mul_i32_i24_e32 v2, 0xffffffb8, v66
	s_xor_b64 exec, exec, s[0:1]
	s_cbranch_execz .LBB0_17
; %bb.16:
	v_mov_b32_e32 v50, 0
	ds_read_b32 v6, v50 offset:15364
	s_waitcnt lgkmcnt(1)
	v_add_f32_e32 v51, v33, v34
	v_sub_f32_e32 v5, v33, v34
	ds_write_b32 v94, v51
	s_waitcnt lgkmcnt(1)
	v_xor_b32_e32 v6, 0x80000000, v6
	ds_write_b32 v50, v6 offset:15364
	v_mov_b32_e32 v6, v50
.LBB0_17:
	s_or_b64 exec, exec, s[0:1]
	s_waitcnt lgkmcnt(0)
	v_mov_b32_e32 v33, s7
	v_add_co_u32_e64 v9, s[0:1], s6, v9
	v_addc_co_u32_e64 v10, s[0:1], v33, v10, s[0:1]
	global_load_dwordx2 v[9:10], v[9:10], off
	v_add_co_u32_e64 v7, s[0:1], s6, v7
	v_addc_co_u32_e64 v8, s[0:1], v33, v8, s[0:1]
	v_add_co_u32_e64 v17, s[0:1], s6, v17
	v_addc_co_u32_e64 v18, s[0:1], v33, v18, s[0:1]
	global_load_dwordx2 v[17:18], v[17:18], off
	v_add_u32_e32 v34, v36, v2
	global_load_dwordx2 v[7:8], v[7:8], off
	v_mov_b32_e32 v36, s7
	v_add_co_u32_e64 v15, s[0:1], s6, v15
	ds_write_b32 v94, v50 offset:4
	ds_write_b64 v49, v[5:6] offset:30720
	v_add_u32_e32 v33, v38, v1
	v_addc_co_u32_e64 v16, s[0:1], v36, v16, s[0:1]
	ds_read_b64 v[1:2], v33
	ds_read_b64 v[5:6], v49 offset:29696
	global_load_dwordx2 v[15:16], v[15:16], off
	v_mov_b32_e32 v38, s7
	v_mov_b32_e32 v50, s7
	s_waitcnt lgkmcnt(0)
	v_add_f32_e32 v36, v1, v5
	v_sub_f32_e32 v1, v1, v5
	v_add_f32_e32 v51, v2, v6
	v_sub_f32_e32 v2, v2, v6
	v_mul_f32_e32 v6, 0.5, v1
	v_mul_f32_e32 v5, 0.5, v51
	;; [unrolled: 1-line block ×3, first 2 shown]
	s_waitcnt vmcnt(3)
	v_mul_f32_e32 v51, v10, v6
	v_fma_f32 v2, v5, v10, v1
	v_fma_f32 v10, v5, v10, -v1
	v_fma_f32 v1, 0.5, v36, v51
	v_fma_f32 v2, -v9, v6, v2
	v_fma_f32 v36, v36, 0.5, -v51
	v_fmac_f32_e32 v1, v9, v5
	v_fma_f32 v6, -v9, v6, v10
	v_fma_f32 v5, -v9, v5, v36
	ds_write_b64 v33, v[1:2]
	ds_write_b64 v49, v[5:6] offset:29696
	ds_read_b64 v[1:2], v34
	ds_read_b64 v[5:6], v49 offset:28672
	v_add_co_u32_e64 v9, s[0:1], s6, v13
	v_addc_co_u32_e64 v10, s[0:1], v38, v14, s[0:1]
	global_load_dwordx2 v[9:10], v[9:10], off
	s_waitcnt lgkmcnt(0)
	v_add_f32_e32 v13, v1, v5
	v_sub_f32_e32 v1, v1, v5
	v_add_f32_e32 v14, v2, v6
	v_sub_f32_e32 v2, v2, v6
	v_mul_f32_e32 v6, 0.5, v1
	v_mul_f32_e32 v5, 0.5, v14
	;; [unrolled: 1-line block ×3, first 2 shown]
	s_waitcnt vmcnt(2)
	v_mul_f32_e32 v14, v8, v6
	v_fma_f32 v2, v5, v8, v1
	v_fma_f32 v8, v5, v8, -v1
	v_fma_f32 v1, 0.5, v13, v14
	v_fma_f32 v2, -v7, v6, v2
	v_fma_f32 v13, v13, 0.5, -v14
	v_fmac_f32_e32 v1, v7, v5
	v_fma_f32 v6, -v7, v6, v8
	v_fma_f32 v5, -v7, v5, v13
	ds_write_b64 v34, v[1:2]
	ds_write_b64 v49, v[5:6] offset:28672
	ds_read_b64 v[1:2], v40
	ds_read_b64 v[5:6], v49 offset:27648
	v_add_co_u32_e64 v7, s[0:1], s6, v11
	v_addc_co_u32_e64 v8, s[0:1], v50, v12, s[0:1]
	global_load_dwordx2 v[7:8], v[7:8], off
	s_waitcnt lgkmcnt(0)
	v_add_f32_e32 v11, v1, v5
	v_sub_f32_e32 v1, v1, v5
	v_add_f32_e32 v12, v2, v6
	v_sub_f32_e32 v2, v2, v6
	v_mul_f32_e32 v6, 0.5, v1
	v_mul_f32_e32 v5, 0.5, v12
	;; [unrolled: 1-line block ×3, first 2 shown]
	v_mul_f32_e32 v12, v18, v6
	v_fma_f32 v2, v5, v18, v1
	v_fma_f32 v13, v5, v18, -v1
	v_fma_f32 v1, 0.5, v11, v12
	v_fma_f32 v2, -v17, v6, v2
	v_fma_f32 v11, v11, 0.5, -v12
	v_fmac_f32_e32 v1, v17, v5
	v_fma_f32 v6, -v17, v6, v13
	v_fma_f32 v5, -v17, v5, v11
	ds_write_b64 v40, v[1:2]
	ds_write_b64 v49, v[5:6] offset:27648
	ds_read_b64 v[1:2], v39
	ds_read_b64 v[5:6], v49 offset:26624
	v_mov_b32_e32 v11, s7
	s_waitcnt lgkmcnt(0)
	v_add_f32_e32 v12, v1, v5
	v_sub_f32_e32 v1, v1, v5
	v_add_co_u32_e64 v5, s[0:1], s6, v31
	v_add_f32_e32 v13, v2, v6
	v_sub_f32_e32 v2, v2, v6
	v_addc_co_u32_e64 v6, s[0:1], v11, v32, s[0:1]
	global_load_dwordx2 v[5:6], v[5:6], off
	v_mul_f32_e32 v14, 0.5, v1
	v_mul_f32_e32 v13, 0.5, v13
	;; [unrolled: 1-line block ×3, first 2 shown]
	s_waitcnt vmcnt(3)
	v_mul_f32_e32 v18, v16, v14
	v_fma_f32 v2, v13, v16, v17
	v_fma_f32 v1, 0.5, v12, v18
	v_fma_f32 v2, -v15, v14, v2
	v_fmac_f32_e32 v1, v15, v13
	ds_write_b64 v39, v[1:2]
	v_fma_f32 v1, v12, 0.5, -v18
	v_fma_f32 v2, v13, v16, -v17
	v_fma_f32 v1, -v15, v13, v1
	v_fma_f32 v2, -v15, v14, v2
	ds_write_b64 v49, v[1:2] offset:26624
	ds_read_b64 v[1:2], v37
	ds_read_b64 v[11:12], v49 offset:25600
	s_waitcnt lgkmcnt(0)
	v_add_f32_e32 v13, v1, v11
	v_add_f32_e32 v14, v2, v12
	v_sub_f32_e32 v1, v1, v11
	v_sub_f32_e32 v2, v2, v12
	v_mul_f32_e32 v15, 0.5, v1
	v_mul_f32_e32 v16, 0.5, v2
	v_mov_b32_e32 v2, s7
	v_add_co_u32_e64 v1, s[0:1], s6, v29
	v_addc_co_u32_e64 v2, s[0:1], v2, v30, s[0:1]
	global_load_dwordx2 v[1:2], v[1:2], off
	v_mul_f32_e32 v14, 0.5, v14
	s_waitcnt vmcnt(3)
	v_mul_f32_e32 v17, v10, v15
	v_fma_f32 v11, 0.5, v13, v17
	v_fma_f32 v12, v14, v10, v16
	v_fmac_f32_e32 v11, v9, v14
	v_fma_f32 v12, -v9, v15, v12
	ds_write_b64 v37, v[11:12]
	v_fma_f32 v11, v13, 0.5, -v17
	v_fma_f32 v10, v14, v10, -v16
	v_fma_f32 v11, -v9, v14, v11
	v_fma_f32 v12, -v9, v15, v10
	ds_write_b64 v49, v[11:12] offset:25600
	ds_read_b64 v[9:10], v48
	ds_read_b64 v[11:12], v49 offset:24576
	s_waitcnt lgkmcnt(0)
	v_add_f32_e32 v13, v9, v11
	v_sub_f32_e32 v9, v9, v11
	v_add_f32_e32 v14, v10, v12
	v_sub_f32_e32 v10, v10, v12
	v_mul_f32_e32 v11, 0.5, v9
	v_mul_f32_e32 v14, 0.5, v14
	;; [unrolled: 1-line block ×3, first 2 shown]
	s_waitcnt vmcnt(2)
	v_mul_f32_e32 v15, v8, v11
	v_fma_f32 v9, 0.5, v13, v15
	v_fma_f32 v10, v14, v8, v12
	v_fmac_f32_e32 v9, v7, v14
	v_fma_f32 v10, -v7, v11, v10
	ds_write_b64 v48, v[9:10]
	v_fma_f32 v9, v13, 0.5, -v15
	v_fma_f32 v8, v14, v8, -v12
	v_fma_f32 v9, -v7, v14, v9
	v_fma_f32 v10, -v7, v11, v8
	v_mov_b32_e32 v8, s7
	v_add_co_u32_e64 v7, s[0:1], s6, v27
	ds_write_b64 v49, v[9:10] offset:24576
	v_addc_co_u32_e64 v8, s[0:1], v8, v28, s[0:1]
	global_load_dwordx2 v[7:8], v[7:8], off
	ds_read_b64 v[9:10], v47
	ds_read_b64 v[11:12], v49 offset:23552
	s_waitcnt lgkmcnt(0)
	v_add_f32_e32 v13, v9, v11
	v_sub_f32_e32 v9, v9, v11
	v_add_f32_e32 v14, v10, v12
	v_sub_f32_e32 v10, v10, v12
	v_mul_f32_e32 v11, 0.5, v9
	v_mul_f32_e32 v14, 0.5, v14
	;; [unrolled: 1-line block ×3, first 2 shown]
	s_waitcnt vmcnt(2)
	v_mul_f32_e32 v15, v6, v11
	v_fma_f32 v9, 0.5, v13, v15
	v_fma_f32 v10, v14, v6, v12
	v_fmac_f32_e32 v9, v5, v14
	v_fma_f32 v10, -v5, v11, v10
	ds_write_b64 v47, v[9:10]
	v_fma_f32 v9, v13, 0.5, -v15
	v_fma_f32 v6, v14, v6, -v12
	v_fma_f32 v9, -v5, v14, v9
	v_fma_f32 v10, -v5, v11, v6
	v_mov_b32_e32 v6, s7
	v_add_co_u32_e64 v5, s[0:1], s6, v25
	v_addc_co_u32_e64 v6, s[0:1], v6, v26, s[0:1]
	global_load_dwordx2 v[5:6], v[5:6], off
	ds_write_b64 v49, v[9:10] offset:23552
	ds_read_b64 v[9:10], v46
	ds_read_b64 v[11:12], v49 offset:22528
	s_waitcnt lgkmcnt(0)
	v_add_f32_e32 v13, v9, v11
	v_sub_f32_e32 v9, v9, v11
	v_add_f32_e32 v14, v10, v12
	v_sub_f32_e32 v10, v10, v12
	v_mul_f32_e32 v12, 0.5, v9
	v_mul_f32_e32 v14, 0.5, v14
	v_mul_f32_e32 v15, 0.5, v10
	s_waitcnt vmcnt(2)
	v_mul_f32_e32 v11, v2, v12
	v_fma_f32 v9, 0.5, v13, v11
	v_fma_f32 v10, v14, v2, v15
	v_fmac_f32_e32 v9, v1, v14
	v_fma_f32 v10, -v1, v12, v10
	ds_write_b64 v46, v[9:10]
	v_mov_b32_e32 v10, s7
	v_add_co_u32_e64 v9, s[0:1], s6, v23
	v_addc_co_u32_e64 v10, s[0:1], v10, v24, s[0:1]
	global_load_dwordx2 v[9:10], v[9:10], off
	v_fma_f32 v11, v13, 0.5, -v11
	v_fma_f32 v2, v14, v2, -v15
	v_fma_f32 v11, -v1, v14, v11
	v_fma_f32 v12, -v1, v12, v2
	ds_write_b64 v49, v[11:12] offset:22528
	ds_read_b64 v[1:2], v45
	ds_read_b64 v[11:12], v49 offset:21504
	s_waitcnt lgkmcnt(0)
	v_add_f32_e32 v13, v1, v11
	v_add_f32_e32 v14, v2, v12
	v_sub_f32_e32 v1, v1, v11
	v_sub_f32_e32 v2, v2, v12
	v_mul_f32_e32 v15, 0.5, v1
	v_mul_f32_e32 v16, 0.5, v2
	v_mov_b32_e32 v2, s7
	v_add_co_u32_e64 v1, s[0:1], s6, v21
	v_addc_co_u32_e64 v2, s[0:1], v2, v22, s[0:1]
	global_load_dwordx2 v[1:2], v[1:2], off
	v_mul_f32_e32 v14, 0.5, v14
	s_waitcnt vmcnt(3)
	v_mul_f32_e32 v17, v8, v15
	v_fma_f32 v11, 0.5, v13, v17
	v_fma_f32 v12, v14, v8, v16
	v_fmac_f32_e32 v11, v7, v14
	v_fma_f32 v12, -v7, v15, v12
	ds_write_b64 v45, v[11:12]
	v_fma_f32 v11, v13, 0.5, -v17
	v_fma_f32 v8, v14, v8, -v16
	v_fma_f32 v11, -v7, v14, v11
	v_fma_f32 v12, -v7, v15, v8
	v_mov_b32_e32 v14, s7
	v_add_co_u32_e64 v13, s[0:1], s6, v19
	ds_write_b64 v49, v[11:12] offset:21504
	v_addc_co_u32_e64 v14, s[0:1], v14, v20, s[0:1]
	ds_read_b64 v[7:8], v35
	ds_read_b64 v[11:12], v49 offset:20480
	global_load_dwordx2 v[13:14], v[13:14], off
	v_add_co_u32_e64 v3, s[0:1], s6, v3
	s_waitcnt lgkmcnt(0)
	v_add_f32_e32 v15, v7, v11
	v_sub_f32_e32 v7, v7, v11
	v_add_f32_e32 v16, v8, v12
	v_sub_f32_e32 v8, v8, v12
	v_mul_f32_e32 v11, 0.5, v7
	v_mul_f32_e32 v16, 0.5, v16
	;; [unrolled: 1-line block ×3, first 2 shown]
	s_waitcnt vmcnt(3)
	v_mul_f32_e32 v17, v6, v11
	v_fma_f32 v7, 0.5, v15, v17
	v_fma_f32 v8, v16, v6, v12
	v_fmac_f32_e32 v7, v5, v16
	v_fma_f32 v8, -v5, v11, v8
	ds_write_b64 v35, v[7:8]
	v_fma_f32 v7, v15, 0.5, -v17
	v_fma_f32 v6, v16, v6, -v12
	v_fma_f32 v7, -v5, v16, v7
	v_fma_f32 v8, -v5, v11, v6
	v_mov_b32_e32 v11, s7
	ds_write_b64 v49, v[7:8] offset:20480
	v_addc_co_u32_e64 v4, s[0:1], v11, v4, s[0:1]
	ds_read_b64 v[5:6], v44
	ds_read_b64 v[7:8], v49 offset:19456
	global_load_dwordx2 v[3:4], v[3:4], off
	s_waitcnt lgkmcnt(0)
	v_add_f32_e32 v11, v5, v7
	v_sub_f32_e32 v5, v5, v7
	v_add_f32_e32 v12, v6, v8
	v_sub_f32_e32 v6, v6, v8
	v_mul_f32_e32 v7, 0.5, v5
	v_mul_f32_e32 v12, 0.5, v12
	v_mul_f32_e32 v8, 0.5, v6
	s_waitcnt vmcnt(3)
	v_mul_f32_e32 v15, v10, v7
	v_fma_f32 v5, 0.5, v11, v15
	v_fma_f32 v6, v12, v10, v8
	v_fmac_f32_e32 v5, v9, v12
	v_fma_f32 v6, -v9, v7, v6
	ds_write_b64 v44, v[5:6]
	v_fma_f32 v5, v11, 0.5, -v15
	v_fma_f32 v6, v12, v10, -v8
	v_fma_f32 v5, -v9, v12, v5
	v_fma_f32 v6, -v9, v7, v6
	ds_write_b64 v49, v[5:6] offset:19456
	ds_read_b64 v[5:6], v43
	ds_read_b64 v[7:8], v49 offset:18432
	s_waitcnt lgkmcnt(0)
	v_add_f32_e32 v9, v5, v7
	v_sub_f32_e32 v5, v5, v7
	v_add_f32_e32 v10, v6, v8
	v_sub_f32_e32 v6, v6, v8
	v_mul_f32_e32 v7, 0.5, v5
	v_mul_f32_e32 v10, 0.5, v10
	v_mul_f32_e32 v8, 0.5, v6
	s_waitcnt vmcnt(2)
	v_mul_f32_e32 v11, v2, v7
	v_fma_f32 v5, 0.5, v9, v11
	v_fma_f32 v6, v10, v2, v8
	v_fmac_f32_e32 v5, v1, v10
	v_fma_f32 v6, -v1, v7, v6
	ds_write_b64 v43, v[5:6]
	v_fma_f32 v5, v9, 0.5, -v11
	v_fma_f32 v2, v10, v2, -v8
	v_fma_f32 v5, -v1, v10, v5
	v_fma_f32 v6, -v1, v7, v2
	ds_write_b64 v49, v[5:6] offset:18432
	ds_read_b64 v[1:2], v42
	ds_read_b64 v[5:6], v49 offset:17408
	;; [unrolled: 22-line block ×3, first 2 shown]
	s_waitcnt lgkmcnt(0)
	v_add_f32_e32 v7, v1, v5
	v_sub_f32_e32 v1, v1, v5
	v_add_f32_e32 v8, v2, v6
	v_sub_f32_e32 v2, v2, v6
	v_mul_f32_e32 v5, 0.5, v1
	v_mul_f32_e32 v8, 0.5, v8
	;; [unrolled: 1-line block ×3, first 2 shown]
	s_waitcnt vmcnt(0)
	v_mul_f32_e32 v9, v4, v5
	v_fma_f32 v1, 0.5, v7, v9
	v_fma_f32 v2, v8, v4, v6
	v_fmac_f32_e32 v1, v3, v8
	v_fma_f32 v2, -v3, v5, v2
	ds_write_b64 v41, v[1:2]
	v_fma_f32 v1, v7, 0.5, -v9
	v_fma_f32 v2, v8, v4, -v6
	v_fma_f32 v1, -v3, v8, v1
	v_fma_f32 v2, -v3, v5, v2
	ds_write_b64 v49, v[1:2] offset:16384
	s_waitcnt lgkmcnt(0)
	s_barrier
	s_and_saveexec_b64 s[0:1], vcc
	s_cbranch_execz .LBB0_20
; %bb.18:
	v_mul_lo_u32 v1, s3, v64
	v_mul_lo_u32 v4, s2, v65
	v_mad_u64_u32 v[2:3], s[0:1], s2, v64, 0
	v_mov_b32_e32 v8, s11
	v_lshl_add_u32 v10, v0, 3, 0
	v_add3_u32 v3, v3, v4, v1
	v_lshlrev_b64 v[2:3], 3, v[2:3]
	v_mov_b32_e32 v1, 0
	v_add_co_u32_e32 v2, vcc, s10, v2
	v_addc_co_u32_e32 v11, vcc, v8, v3, vcc
	v_lshlrev_b64 v[8:9], 3, v[62:63]
	ds_read2st64_b64 v[4:7], v10 offset1:2
	v_add_co_u32_e32 v3, vcc, v2, v8
	v_addc_co_u32_e32 v2, vcc, v11, v9, vcc
	v_lshlrev_b64 v[8:9], 3, v[0:1]
	s_movk_i32 s0, 0x7f
	v_add_co_u32_e32 v8, vcc, v3, v8
	v_addc_co_u32_e32 v9, vcc, v2, v9, vcc
	s_waitcnt lgkmcnt(0)
	global_store_dwordx2 v[8:9], v[4:5], off
	v_add_u32_e32 v4, 0x80, v0
	v_mov_b32_e32 v5, v1
	v_lshlrev_b64 v[4:5], 3, v[4:5]
	v_add_u32_e32 v8, 0x100, v0
	v_add_co_u32_e32 v4, vcc, v3, v4
	v_addc_co_u32_e32 v5, vcc, v2, v5, vcc
	global_store_dwordx2 v[4:5], v[6:7], off
	v_mov_b32_e32 v9, v1
	ds_read2st64_b64 v[4:7], v10 offset0:4 offset1:6
	v_lshlrev_b64 v[8:9], 3, v[8:9]
	v_add_co_u32_e32 v8, vcc, v3, v8
	v_addc_co_u32_e32 v9, vcc, v2, v9, vcc
	s_waitcnt lgkmcnt(0)
	global_store_dwordx2 v[8:9], v[4:5], off
	v_add_u32_e32 v4, 0x180, v0
	v_mov_b32_e32 v5, v1
	v_lshlrev_b64 v[4:5], 3, v[4:5]
	v_add_u32_e32 v8, 0x200, v0
	v_add_co_u32_e32 v4, vcc, v3, v4
	v_addc_co_u32_e32 v5, vcc, v2, v5, vcc
	global_store_dwordx2 v[4:5], v[6:7], off
	v_mov_b32_e32 v9, v1
	ds_read2st64_b64 v[4:7], v10 offset0:8 offset1:10
	v_lshlrev_b64 v[8:9], 3, v[8:9]
	;; [unrolled: 14-line block ×14, first 2 shown]
	v_add_co_u32_e32 v8, vcc, v3, v8
	v_addc_co_u32_e32 v9, vcc, v2, v9, vcc
	s_waitcnt lgkmcnt(0)
	global_store_dwordx2 v[8:9], v[4:5], off
	v_add_u32_e32 v4, 0xe80, v0
	v_mov_b32_e32 v5, v1
	v_lshlrev_b64 v[4:5], 3, v[4:5]
	v_add_co_u32_e32 v4, vcc, v3, v4
	v_addc_co_u32_e32 v5, vcc, v2, v5, vcc
	v_cmp_eq_u32_e32 vcc, s0, v0
	global_store_dwordx2 v[4:5], v[6:7], off
	s_and_b64 exec, exec, vcc
	s_cbranch_execz .LBB0_20
; %bb.19:
	ds_read_b64 v[0:1], v1 offset:30720
	v_add_co_u32_e32 v3, vcc, 0x7000, v3
	v_addc_co_u32_e32 v4, vcc, 0, v2, vcc
	s_waitcnt lgkmcnt(0)
	global_store_dwordx2 v[3:4], v[0:1], off offset:2048
.LBB0_20:
	s_endpgm
	.section	.rodata,"a",@progbits
	.p2align	6, 0x0
	.amdhsa_kernel fft_rtc_fwd_len3840_factors_10_6_2_2_2_2_2_2_wgs_128_tpt_128_halfLds_sp_op_CI_CI_unitstride_sbrr_R2C_dirReg
		.amdhsa_group_segment_fixed_size 0
		.amdhsa_private_segment_fixed_size 0
		.amdhsa_kernarg_size 104
		.amdhsa_user_sgpr_count 6
		.amdhsa_user_sgpr_private_segment_buffer 1
		.amdhsa_user_sgpr_dispatch_ptr 0
		.amdhsa_user_sgpr_queue_ptr 0
		.amdhsa_user_sgpr_kernarg_segment_ptr 1
		.amdhsa_user_sgpr_dispatch_id 0
		.amdhsa_user_sgpr_flat_scratch_init 0
		.amdhsa_user_sgpr_private_segment_size 0
		.amdhsa_uses_dynamic_stack 0
		.amdhsa_system_sgpr_private_segment_wavefront_offset 0
		.amdhsa_system_sgpr_workgroup_id_x 1
		.amdhsa_system_sgpr_workgroup_id_y 0
		.amdhsa_system_sgpr_workgroup_id_z 0
		.amdhsa_system_sgpr_workgroup_info 0
		.amdhsa_system_vgpr_workitem_id 0
		.amdhsa_next_free_vgpr 157
		.amdhsa_next_free_sgpr 28
		.amdhsa_reserve_vcc 1
		.amdhsa_reserve_flat_scratch 0
		.amdhsa_float_round_mode_32 0
		.amdhsa_float_round_mode_16_64 0
		.amdhsa_float_denorm_mode_32 3
		.amdhsa_float_denorm_mode_16_64 3
		.amdhsa_dx10_clamp 1
		.amdhsa_ieee_mode 1
		.amdhsa_fp16_overflow 0
		.amdhsa_exception_fp_ieee_invalid_op 0
		.amdhsa_exception_fp_denorm_src 0
		.amdhsa_exception_fp_ieee_div_zero 0
		.amdhsa_exception_fp_ieee_overflow 0
		.amdhsa_exception_fp_ieee_underflow 0
		.amdhsa_exception_fp_ieee_inexact 0
		.amdhsa_exception_int_div_zero 0
	.end_amdhsa_kernel
	.text
.Lfunc_end0:
	.size	fft_rtc_fwd_len3840_factors_10_6_2_2_2_2_2_2_wgs_128_tpt_128_halfLds_sp_op_CI_CI_unitstride_sbrr_R2C_dirReg, .Lfunc_end0-fft_rtc_fwd_len3840_factors_10_6_2_2_2_2_2_2_wgs_128_tpt_128_halfLds_sp_op_CI_CI_unitstride_sbrr_R2C_dirReg
                                        ; -- End function
	.section	.AMDGPU.csdata,"",@progbits
; Kernel info:
; codeLenInByte = 22380
; NumSgprs: 32
; NumVgprs: 157
; ScratchSize: 0
; MemoryBound: 0
; FloatMode: 240
; IeeeMode: 1
; LDSByteSize: 0 bytes/workgroup (compile time only)
; SGPRBlocks: 3
; VGPRBlocks: 39
; NumSGPRsForWavesPerEU: 32
; NumVGPRsForWavesPerEU: 157
; Occupancy: 1
; WaveLimiterHint : 1
; COMPUTE_PGM_RSRC2:SCRATCH_EN: 0
; COMPUTE_PGM_RSRC2:USER_SGPR: 6
; COMPUTE_PGM_RSRC2:TRAP_HANDLER: 0
; COMPUTE_PGM_RSRC2:TGID_X_EN: 1
; COMPUTE_PGM_RSRC2:TGID_Y_EN: 0
; COMPUTE_PGM_RSRC2:TGID_Z_EN: 0
; COMPUTE_PGM_RSRC2:TIDIG_COMP_CNT: 0
	.type	__hip_cuid_72e9fc026e2565cf,@object ; @__hip_cuid_72e9fc026e2565cf
	.section	.bss,"aw",@nobits
	.globl	__hip_cuid_72e9fc026e2565cf
__hip_cuid_72e9fc026e2565cf:
	.byte	0                               ; 0x0
	.size	__hip_cuid_72e9fc026e2565cf, 1

	.ident	"AMD clang version 19.0.0git (https://github.com/RadeonOpenCompute/llvm-project roc-6.4.0 25133 c7fe45cf4b819c5991fe208aaa96edf142730f1d)"
	.section	".note.GNU-stack","",@progbits
	.addrsig
	.addrsig_sym __hip_cuid_72e9fc026e2565cf
	.amdgpu_metadata
---
amdhsa.kernels:
  - .args:
      - .actual_access:  read_only
        .address_space:  global
        .offset:         0
        .size:           8
        .value_kind:     global_buffer
      - .offset:         8
        .size:           8
        .value_kind:     by_value
      - .actual_access:  read_only
        .address_space:  global
        .offset:         16
        .size:           8
        .value_kind:     global_buffer
      - .actual_access:  read_only
        .address_space:  global
        .offset:         24
        .size:           8
        .value_kind:     global_buffer
      - .actual_access:  read_only
        .address_space:  global
        .offset:         32
        .size:           8
        .value_kind:     global_buffer
      - .offset:         40
        .size:           8
        .value_kind:     by_value
      - .actual_access:  read_only
        .address_space:  global
        .offset:         48
        .size:           8
        .value_kind:     global_buffer
      - .actual_access:  read_only
        .address_space:  global
        .offset:         56
        .size:           8
        .value_kind:     global_buffer
      - .offset:         64
        .size:           4
        .value_kind:     by_value
      - .actual_access:  read_only
        .address_space:  global
        .offset:         72
        .size:           8
        .value_kind:     global_buffer
      - .actual_access:  read_only
        .address_space:  global
        .offset:         80
        .size:           8
        .value_kind:     global_buffer
      - .actual_access:  read_only
        .address_space:  global
        .offset:         88
        .size:           8
        .value_kind:     global_buffer
      - .actual_access:  write_only
        .address_space:  global
        .offset:         96
        .size:           8
        .value_kind:     global_buffer
    .group_segment_fixed_size: 0
    .kernarg_segment_align: 8
    .kernarg_segment_size: 104
    .language:       OpenCL C
    .language_version:
      - 2
      - 0
    .max_flat_workgroup_size: 128
    .name:           fft_rtc_fwd_len3840_factors_10_6_2_2_2_2_2_2_wgs_128_tpt_128_halfLds_sp_op_CI_CI_unitstride_sbrr_R2C_dirReg
    .private_segment_fixed_size: 0
    .sgpr_count:     32
    .sgpr_spill_count: 0
    .symbol:         fft_rtc_fwd_len3840_factors_10_6_2_2_2_2_2_2_wgs_128_tpt_128_halfLds_sp_op_CI_CI_unitstride_sbrr_R2C_dirReg.kd
    .uniform_work_group_size: 1
    .uses_dynamic_stack: false
    .vgpr_count:     157
    .vgpr_spill_count: 0
    .wavefront_size: 64
amdhsa.target:   amdgcn-amd-amdhsa--gfx906
amdhsa.version:
  - 1
  - 2
...

	.end_amdgpu_metadata
